;; amdgpu-corpus repo=ROCm/aiter kind=harvested arch=n/a opt=n/a

/root/src/amdgpu-assembly/repos/ROCm__aiter/hsa/gfx942/mla/mla_a16w16_qh8_qseqlen1_gqaratio8_v3.co:	file format elf64-amdgpu

Disassembly of section .text:

0000000000002100 <_ZN5aiter36mla_a16w16_qh8_qseqlen1_gqaratio8_v3E>:
	s_and_b32 s1, s1, 0xffff                                   // 000000002100: 8601FF01 0000FFFF
	s_load_dwordx2 s[8:9], s[0:1], 0x0                         // 000000002108: C0060200 00000000
	s_load_dwordx2 s[12:13], s[0:1], 0x10                      // 000000002110: C0060300 00000010
	s_load_dwordx2 s[16:17], s[0:1], 0x20                      // 000000002118: C0060400 00000020
	s_load_dwordx2 s[20:21], s[0:1], 0x30                      // 000000002120: C0060500 00000030
	s_load_dwordx2 s[28:29], s[0:1], 0x40                      // 000000002128: C0060700 00000040
	s_load_dwordx2 s[24:25], s[0:1], 0x50                      // 000000002130: C0060600 00000050
	s_load_dwordx2 s[30:31], s[0:1], 0x60                      // 000000002138: C0060780 00000060
	s_load_dword s64, s[0:1], 0x70                             // 000000002140: C0021000 00000070
	s_load_dword s65, s[0:1], 0x80                             // 000000002148: C0021040 00000080
	s_load_dword s67, s[0:1], 0x90                             // 000000002150: C00210C0 00000090
	s_load_dword s66, s[0:1], 0xa0                             // 000000002158: C0021080 000000A0
	s_load_dword s68, s[0:1], 0xb0                             // 000000002160: C0021100 000000B0
	s_load_dword s69, s[0:1], 0xc0                             // 000000002168: C0021140 000000C0
	v_lshrrev_b32_e32 v1, 10, v0                               // 000000002170: 2002008A
	v_lshrrev_b32_e32 v2, 10, v1                               // 000000002174: 2004028A
	v_and_b32_e32 v2, 0x3ff, v2                                // 000000002178: 260404FF 000003FF
	v_and_b32_e32 v1, 0x3ff, v1                                // 000000002180: 260202FF 000003FF
	v_and_b32_e32 v0, 0x3ff, v0                                // 000000002188: 260000FF 000003FF
	v_lshrrev_b32_e32 v3, 6, v0                                // 000000002190: 20060086
	v_and_b32_e32 v0, 63, v0                                   // 000000002194: 260000BF
	s_mov_b32 s2, s2                                           // 000000002198: BE820002
	s_mov_b32 s3, s3                                           // 00000000219C: BE830003
	s_mov_b32 s4, s4                                           // 0000000021A0: BE840004
	v_readfirstlane_b32 s7, v3                                 // 0000000021A4: 7E0E0503
	s_waitcnt lgkmcnt(0)                                       // 0000000021A8: BF8CC07F
	s_min_u32 s76, 8, s65                                      // 0000000021AC: 83CC4188
	s_mul_i32 s56, s3, 4                                       // 0000000021B0: 92388403
	s_and_b32 s29, s29, 0xffff                                 // 0000000021B4: 861DFF1D 0000FFFF
	s_and_b32 s31, s31, 0xffff                                 // 0000000021BC: 861FFF1F 0000FFFF
	s_add_u32 s28, s56, s28                                    // 0000000021C4: 801C1C38
	s_addc_u32 s29, 0, s29                                     // 0000000021C8: 821D1D80
	s_load_dword s47, s[28:29], 0x0                            // 0000000021CC: C0020BCE 00000000
	s_load_dword s46, s[28:29], 0x4                            // 0000000021D4: C0020B8E 00000004
	s_mul_i32 s75, 0x800, s65                                  // 0000000021DC: 924B41FF 00000800
	s_mul_i32 s74, 0x480, s65                                  // 0000000021E4: 924A41FF 00000480
	s_mul_i32 s56, 4, s65                                      // 0000000021EC: 92384184
	s_mov_b32 s10, s75                                         // 0000000021F0: BE8A004B
	s_mov_b32 s18, s74                                         // 0000000021F4: BE92004A
	s_mov_b32 s14, s56                                         // 0000000021F8: BE8E0038
	s_mov_b32 s22, -16                                         // 0000000021FC: BE9600D0
	s_mov_b32 s26, -16                                         // 000000002200: BE9A00D0
	s_mov_b32 s11, 0x20000                                     // 000000002204: BE8B00FF 00020000
	s_mov_b32 s19, 0x20000                                     // 00000000220C: BE9300FF 00020000
	s_mov_b32 s15, 0x20000                                     // 000000002214: BE8F00FF 00020000
	s_mov_b32 s23, 0x20000                                     // 00000000221C: BE9700FF 00020000
	s_mov_b32 s27, 0x20000                                     // 000000002224: BE9B00FF 00020000
	s_and_b32 s9, s9, 0xffff                                   // 00000000222C: 8609FF09 0000FFFF
	s_and_b32 s17, s17, 0xffff                                 // 000000002234: 8611FF11 0000FFFF
	s_and_b32 s13, s13, 0xffff                                 // 00000000223C: 860DFF0D 0000FFFF
	s_and_b32 s21, s21, 0xffff                                 // 000000002244: 8615FF15 0000FFFF
	s_and_b32 s25, s25, 0xffff                                 // 00000000224C: 8619FF19 0000FFFF
	s_or_b32 s9, s9, 0x40000                                   // 000000002254: 8709FF09 00040000
	s_or_b32 s17, s17, 0x40000                                 // 00000000225C: 8711FF11 00040000
	s_or_b32 s13, s13, 0x40000                                 // 000000002264: 870DFF0D 00040000
	s_or_b32 s21, s21, 0x40000                                 // 00000000226C: 8715FF15 00040000
	s_or_b32 s25, s25, 0x40000                                 // 000000002274: 8719FF19 00040000
	s_waitcnt lgkmcnt(0)                                       // 00000000227C: BF8CC07F
	s_mov_b32 s69, 0                                           // 000000002280: BEC50080
	s_lshr_b32 s44, 64, s69                                    // 000000002284: 8F2C45C0
	s_mul_i32 s73, s44, 4                                      // 000000002288: 9249842C
	s_mul_i32 s73, s73, s67                                    // 00000000228C: 92494349
	s_mul_i32 s45, s4, s44                                     // 000000002290: 922D2C04
	s_sub_u32 s50, s46, s47                                    // 000000002294: 80B22F2E
	s_mul_i32 s56, s67, s75                                    // 000000002298: 92384B43
	s_mul_i32 s56, s3, s56                                     // 00000000229C: 92383803
	s_mul_i32 s57, s4, s75                                     // 0000000022A0: 92394B04
	s_add_u32 s56, s57, s56                                    // 0000000022A4: 80383839
	s_add_u32 s8, s56, s8                                      // 0000000022A8: 80080838
	s_addc_u32 s9, 0, s9                                       // 0000000022AC: 82090980
	s_mul_i32 s56, s7, 0x200                                   // 0000000022B0: 9238FF07 00000200
	v_lshlrev_b32_e32 v17, 3, v0                               // 0000000022B8: 24220083
	v_add_u32_e64 v17, v17, s56                                // 0000000022BC: D1340011 00007111
	s_mul_i32 s56, 0x800, s76                                  // 0000000022C4: 92384CFF 00000800
	s_mul_i32 s56, s2, s56                                     // 0000000022CC: 92383802
	v_add_u32_e64 v17, v17, s56                                // 0000000022D0: D1340011 00007111
	s_mul_i32 s58, 4, s65                                      // 0000000022D8: 923A4184
	s_mul_i32 s56, s67, s58                                    // 0000000022DC: 92383A43
	s_mul_i32 s56, s3, s56                                     // 0000000022E0: 92383803
	s_mul_i32 s57, s4, s58                                     // 0000000022E4: 92393A04
	s_add_u32 s56, s57, s56                                    // 0000000022E8: 80383839
	s_add_u32 s12, s56, s12                                    // 0000000022EC: 800C0C38
	s_addc_u32 s13, 0, s13                                     // 0000000022F0: 820D0D80
	s_mul_i32 s56, 4, s76                                      // 0000000022F4: 92384C84
	s_mul_i32 s56, s2, s56                                     // 0000000022F8: 92383802
	v_lshlrev_b32_e32 v16, 2, v0                               // 0000000022FC: 24200082
	v_add_u32_e64 v16, v16, s56                                // 000000002300: D1340010 00007110
	s_cmp_le_u32 s50, s45                                      // 000000002308: BF0B2D32
	s_cbranch_scc1 label_1448                                  // 00000000230C: BF8513A2
	s_mul_i32 s56, s50, 4                                      // 000000002310: 92388432
	s_mov_b32 s26, s56                                         // 000000002314: BE9A0038
	s_mul_i32 s56, s47, 4                                      // 000000002318: 9238842F
	s_add_u32 s24, s56, s24                                    // 00000000231C: 80181838
	s_addc_u32 s25, 0, s25                                     // 000000002320: 82191980
	s_mov_b32 s70, 0                                           // 000000002324: BEC60080
	s_sub_u32 s71, s50, s45                                    // 000000002328: 80C72D32
	s_mul_i32 s33, s67, s44                                    // 00000000232C: 92212C43
	s_mov_b32 s32, s71                                         // 000000002330: BEA00047
	v_cvt_f32_u32_e32 v32, s33                                 // 000000002334: 7E400C21
	s_sub_i32 s56, 0, s33                                      // 000000002338: 81B82180
	v_rcp_iflag_f32_e32 v32, v32                               // 00000000233C: 7E404720
	s_nop 0                                                    // 000000002340: BF800000
	v_mul_f32_e32 v32, 0x4f7ffffe, v32                         // 000000002344: 0A4040FF 4F7FFFFE
	v_cvt_u32_f32_e32 v32, v32                                 // 00000000234C: 7E400F20
	v_mul_lo_u32 v33, s56, v32                                 // 000000002350: D2850021 00024038
	v_mul_hi_u32 v33, v32, v33                                 // 000000002358: D2860021 00024320
	v_add_u32_e32 v32, v32, v33                                // 000000002360: 68404320
	v_mul_hi_u32 v32, s32, v32                                 // 000000002364: D2860020 00024020
	v_mul_lo_u32 v33, v32, s33                                 // 00000000236C: D2850021 00004320
	v_sub_u32_e32 v35, s32, v33                                // 000000002374: 6A464220
	v_add_u32_e32 v34, 1, v32                                  // 000000002378: 68444081
	v_cmp_le_u32_e32 vcc, s33, v35                             // 00000000237C: 7D964621
	v_subrev_u32_e32 v33, s33, v35                             // 000000002380: 6C424621
	s_nop 0                                                    // 000000002384: BF800000
	v_cndmask_b32_e32 v32, v32, v34, vcc                       // 000000002388: 00404520
	v_cndmask_b32_e32 v35, v35, v33, vcc                       // 00000000238C: 00464323
	v_add_u32_e32 v33, 1, v32                                  // 000000002390: 68424081
	v_cmp_le_u32_e32 vcc, s33, v35                             // 000000002394: 7D964621
	s_nop 1                                                    // 000000002398: BF800001
	v_cndmask_b32_e32 v35, v32, v33, vcc                       // 00000000239C: 00464320
	s_nop 3                                                    // 0000000023A0: BF800003
	v_readfirstlane_b32 s34, v35                               // 0000000023A4: 7E440523
	s_nop 3                                                    // 0000000023A8: BF800003
	s_mov_b32 s71, s34                                         // 0000000023AC: BEC70022
	s_mul_i32 s56, s71, s33                                    // 0000000023B0: 92382147
	s_sub_u32 s56, s32, s56                                    // 0000000023B4: 80B83820
	s_mov_b32 s57, 0                                           // 0000000023B8: BEB90080
	s_cmp_lt_u32 s56, s44                                      // 0000000023BC: BF0A2C38
	s_cselect_b32 s57, s57, 1                                  // 0000000023C0: 85398139
	s_add_u32 s71, s57, s71                                    // 0000000023C4: 80474739
	s_cmpk_eq_u32 s57, 0x1                                     // 0000000023C8: B4390001
	s_cselect_b32 s49, 0, s56                                  // 0000000023CC: 85313880
	s_mov_b32 s48, s49                                         // 0000000023D0: BEB00031
	v_lshrrev_b32_e32 v32, 3, v0                               // 0000000023D4: 20400083
	v_and_b32_e32 v33, 1, v32                                  // 0000000023D8: 26424081
	v_lshlrev_b32_e32 v26, 5, v33                              // 0000000023DC: 24344285
	v_lshrrev_b32_e32 v32, 1, v32                              // 0000000023E0: 20404081
	v_lshlrev_b32_e32 v32, 3, v32                              // 0000000023E4: 24404083
	v_add_u32_e32 v26, v26, v32                                // 0000000023E8: 6834411A
	v_and_b32_e32 v32, 7, v0                                   // 0000000023EC: 26400087
	v_add_u32_e32 v26, v26, v32                                // 0000000023F0: 6834411A
	v_add_u32_e32 v26, s45, v26                                // 0000000023F4: 6834342D
	v_lshlrev_b32_e32 v26, 2, v26                              // 0000000023F8: 24343482
	buffer_load_dword v24, v26, s[24:27], 0 offen              // 0000000023FC: E0501000 8006181A
	v_add_u32_e32 v26, s73, v26                                // 000000002404: 68343449
	buffer_load_dword v25, v26, s[24:27], 0 offen              // 000000002408: E0501000 8006191A
	v_add_u32_e32 v26, s73, v26                                // 000000002410: 68343449
	s_mul_i32 s56, s3, s66                                     // 000000002414: 92384203
	s_add_u32 s16, s56, s16                                    // 000000002418: 80101038
	s_addc_u32 s17, 0, s17                                     // 00000000241C: 82111180
	s_mul_i32 s56, s7, 0x1420                                  // 000000002420: 9238FF07 00001420
	s_add_u32 m0, 0, s56                                       // 000000002428: 807C3880
	s_mul_i32 s56, s7, 0x480                                   // 00000000242C: 9238FF07 00000480
	v_lshlrev_b32_e32 v32, 2, v0                               // 000000002434: 24400082
	v_add_u32_e64 v32, v32, s56                                // 000000002438: D1340020 00007120
	s_mul_i32 s56, 0x480, s76                                  // 000000002440: 92384CFF 00000480
	s_mul_i32 s56, s2, s56                                     // 000000002448: 92383802
	v_add_u32_e64 v32, v32, s56                                // 00000000244C: D1340020 00007120
	buffer_load_dword v32, s[16:19], 0 offen lds               // 000000002454: E0511000 80040020
	buffer_load_dword v32, s[16:19], 0 offen offset:256 lds    // 00000000245C: E0511100 80040020
	buffer_load_dword v32, s[16:19], 0 offen offset:512 lds    // 000000002464: E0511200 80040020
	buffer_load_dword v32, s[16:19], 0 offen offset:768 lds    // 00000000246C: E0511300 80040020
	buffer_load_dword v32, s[16:19], 0 offen offset:1024 lds   // 000000002474: E0511400 80040020
	s_add_u32 m0, m0, 0x500                                    // 00000000247C: 807CFF7C 00000500
	v_add_u32_e32 v32, 0x1200, v32                             // 000000002484: 684040FF 00001200
	buffer_load_dword v32, s[16:19], 0 offen lds               // 00000000248C: E0511000 80040020
	buffer_load_dword v32, s[16:19], 0 offen offset:256 lds    // 000000002494: E0511100 80040020
	buffer_load_dword v32, s[16:19], 0 offen offset:512 lds    // 00000000249C: E0511200 80040020
	buffer_load_dword v32, s[16:19], 0 offen offset:768 lds    // 0000000024A4: E0511300 80040020
	buffer_load_dword v32, s[16:19], 0 offen offset:1024 lds   // 0000000024AC: E0511400 80040020
	s_add_u32 m0, m0, 0x500                                    // 0000000024B4: 807CFF7C 00000500
	v_add_u32_e32 v32, 0x1200, v32                             // 0000000024BC: 684040FF 00001200
	v_mov_b32_e32 v10, s68                                     // 0000000024C4: 7E140244
	s_mov_b32 s52, 0x7060302                                   // 0000000024C8: BEB400FF 07060302
	s_mov_b32 s53, 0x5040100                                   // 0000000024D0: BEB500FF 05040100
	s_mul_i32 s51, s7, 4                                       // 0000000024D8: 92338407
	s_mov_b32 s6, 0x3fb8aa3b                                   // 0000000024DC: BE8600FF 3FB8AA3B
	v_mov_b32_e32 v33, s6                                      // 0000000024E4: 7E420206
	v_mov_b32_e32 v32, s64                                     // 0000000024E8: 7E400240
	v_mul_f32_e32 v32, s6, v32                                 // 0000000024EC: 0A404006
	v_rcp_f32_e32 v33, v33                                     // 0000000024F0: 7E424521
	v_mov_b32_e32 v12, 0xff800000                              // 0000000024F4: 7E1802FF FF800000
	v_mov_b32_e32 v11, 0xff800000                              // 0000000024FC: 7E1602FF FF800000
	v_mov_b32_e32 v18, 0                                       // 000000002504: 7E240280
	v_mov_b32_e32 v14, 0                                       // 000000002508: 7E1C0280
	v_mov_b32_e32 v29, 0xffff0000                              // 00000000250C: 7E3A02FF FFFF0000
	v_mov_b32_e32 v30, 0x7fff0000                              // 000000002514: 7E3C02FF 7FFF0000
	v_mov_b32_e32 v31, 0x7fff                                  // 00000000251C: 7E3E02FF 00007FFF
	v_readfirstlane_b32 s5, v32                                // 000000002524: 7E0A0520
	v_readfirstlane_b32 s63, v33                               // 000000002528: 7E7E0521
	v_and_b32_e32 v4, 15, v0                                   // 00000000252C: 2608008F
	v_lshlrev_b32_e32 v4, 2, v4                                // 000000002530: 24080882
	v_lshlrev_b32_e32 v5, 2, v0                                // 000000002534: 240A0082
	s_mul_i32 s56, 0x100, s7                                   // 000000002538: 923807FF 00000100
	v_add_u32_e32 v5, s56, v5                                  // 000000002540: 680A0A38
	v_lshrrev_b32_e32 v32, 4, v0                               // 000000002544: 20400084
	v_lshlrev_b32_e32 v33, 6, v32                              // 000000002548: 24424086
	v_and_b32_e32 v32, 15, v0                                  // 00000000254C: 2640008F
	v_lshlrev_b32_e32 v32, 1, v32                              // 000000002550: 24404081
	v_add_u32_e32 v33, v32, v33                                // 000000002554: 68424320
	v_lshlrev_b32_e32 v6, 2, v33                               // 000000002558: 240C4282
	v_lshlrev_b32_e32 v32, 3, v0                               // 00000000255C: 24400083
	s_mul_i32 s56, 0x200, s7                                   // 000000002560: 923807FF 00000200
	v_add_u32_e64 v7, v32, s56                                 // 000000002568: D1340007 00007120
	v_and_b32_e32 v32, 15, v0                                  // 000000002570: 2640008F
	v_lshlrev_b32_e32 v2, 4, v32                               // 000000002574: 24044084
	v_lshlrev_b32_e32 v3, 2, v32                               // 000000002578: 24064082
	s_mul_i32 s56, s7, 0x100                                   // 00000000257C: 9238FF07 00000100
	v_add_u32_e32 v2, s56, v2                                  // 000000002584: 68040438
	s_mul_i32 s56, 4, 0x100                                    // 000000002588: 9238FF84 00000100
	v_add_u32_e32 v3, s56, v3                                  // 000000002590: 68060638
	s_waitcnt vmcnt(10)                                        // 000000002594: BF8C0F7A
	v_mul_u32_u24_dpp v40, v24, v10 row_newbcast:0 row_mask:0xf bank_mask:0xf// 000000002598: 105014FA FF015018
	v_mul_u32_u24_dpp v41, v24, v10 row_newbcast:1 row_mask:0xf bank_mask:0xf// 0000000025A0: 105214FA FF015118
	v_mul_u32_u24_dpp v42, v24, v10 row_newbcast:2 row_mask:0xf bank_mask:0xf// 0000000025A8: 105414FA FF015218
	v_mul_u32_u24_dpp v43, v24, v10 row_newbcast:3 row_mask:0xf bank_mask:0xf// 0000000025B0: 105614FA FF015318
	v_mul_u32_u24_dpp v44, v24, v10 row_newbcast:4 row_mask:0xf bank_mask:0xf// 0000000025B8: 105814FA FF015418
	v_mul_u32_u24_dpp v45, v24, v10 row_newbcast:5 row_mask:0xf bank_mask:0xf// 0000000025C0: 105A14FA FF015518
	v_mul_u32_u24_dpp v46, v24, v10 row_newbcast:6 row_mask:0xf bank_mask:0xf// 0000000025C8: 105C14FA FF015618
	v_mul_u32_u24_dpp v47, v24, v10 row_newbcast:7 row_mask:0xf bank_mask:0xf// 0000000025D0: 105E14FA FF015718
	v_mul_u32_u24_dpp v48, v24, v10 row_newbcast:8 row_mask:0xf bank_mask:0xf// 0000000025D8: 106014FA FF015818
	v_mul_u32_u24_dpp v49, v24, v10 row_newbcast:9 row_mask:0xf bank_mask:0xf// 0000000025E0: 106214FA FF015918
	v_mul_u32_u24_dpp v50, v24, v10 row_newbcast:10 row_mask:0xf bank_mask:0xf// 0000000025E8: 106414FA FF015A18
	v_mul_u32_u24_dpp v51, v24, v10 row_newbcast:11 row_mask:0xf bank_mask:0xf// 0000000025F0: 106614FA FF015B18
	v_mul_u32_u24_dpp v52, v24, v10 row_newbcast:12 row_mask:0xf bank_mask:0xf// 0000000025F8: 106814FA FF015C18
	v_mul_u32_u24_dpp v53, v24, v10 row_newbcast:13 row_mask:0xf bank_mask:0xf// 000000002600: 106A14FA FF015D18
	v_mul_u32_u24_dpp v54, v24, v10 row_newbcast:14 row_mask:0xf bank_mask:0xf// 000000002608: 106C14FA FF015E18
	v_mul_u32_u24_dpp v55, v24, v10 row_newbcast:15 row_mask:0xf bank_mask:0xf// 000000002610: 106E14FA FF015F18
	s_mov_b32 s56, m0                                          // 000000002618: BEB8007C
	s_set_gpr_idx_on s51, gpr_idx(SRC0)                        // 00000000261C: BF110133
	v_add_u32_e32 v36, v40, v3                                 // 000000002620: 68480728
	v_add_u32_e32 v37, v41, v3                                 // 000000002624: 684A0729
	v_add_u32_e32 v38, v42, v3                                 // 000000002628: 684C072A
	v_add_u32_e32 v39, v43, v3                                 // 00000000262C: 684E072B
	s_set_gpr_idx_off                                          // 000000002630: BF9C0000
	s_mov_b32 m0, s56                                          // 000000002634: BEFC0038
	v_add_u32_e32 v40, v40, v2                                 // 000000002638: 68500528
	v_add_u32_e32 v41, v41, v2                                 // 00000000263C: 68520529
	v_add_u32_e32 v42, v42, v2                                 // 000000002640: 6854052A
	v_add_u32_e32 v43, v43, v2                                 // 000000002644: 6856052B
	v_add_u32_e32 v44, v44, v2                                 // 000000002648: 6858052C
	v_add_u32_e32 v45, v45, v2                                 // 00000000264C: 685A052D
	v_add_u32_e32 v46, v46, v2                                 // 000000002650: 685C052E
	v_add_u32_e32 v47, v47, v2                                 // 000000002654: 685E052F
	v_add_u32_e32 v48, v48, v2                                 // 000000002658: 68600530
	v_add_u32_e32 v49, v49, v2                                 // 00000000265C: 68620531
	v_add_u32_e32 v50, v50, v2                                 // 000000002660: 68640532
	v_add_u32_e32 v51, v51, v2                                 // 000000002664: 68660533
	;; [unrolled: 1-line block ×3, first 2 shown]
	v_add_u32_e32 v53, v53, v2                                 // 00000000266C: 686A0535
	v_add_u32_e32 v54, v54, v2                                 // 000000002670: 686C0536
	v_add_u32_e32 v55, v55, v2                                 // 000000002674: 686E0537
	buffer_load_dwordx4 v[128:131], v40, s[20:23], 0 offen     // 000000002678: E05C1000 80058028
	buffer_load_dwordx4 v[132:135], v41, s[20:23], 0 offen     // 000000002680: E05C1000 80058429
	buffer_load_dwordx4 v[136:139], v42, s[20:23], 0 offen     // 000000002688: E05C1000 8005882A
	buffer_load_dwordx4 v[140:143], v43, s[20:23], 0 offen     // 000000002690: E05C1000 80058C2B
	buffer_load_dwordx4 v[144:147], v44, s[20:23], 0 offen     // 000000002698: E05C1000 8005902C
	buffer_load_dwordx4 v[148:151], v45, s[20:23], 0 offen     // 0000000026A0: E05C1000 8005942D
	buffer_load_dwordx4 v[152:155], v46, s[20:23], 0 offen     // 0000000026A8: E05C1000 8005982E
	buffer_load_dwordx4 v[156:159], v47, s[20:23], 0 offen     // 0000000026B0: E05C1000 80059C2F
	buffer_load_dwordx4 v[160:163], v48, s[20:23], 0 offen     // 0000000026B8: E05C1000 8005A030
	buffer_load_dwordx4 v[164:167], v49, s[20:23], 0 offen     // 0000000026C0: E05C1000 8005A431
	buffer_load_dwordx4 v[168:171], v50, s[20:23], 0 offen     // 0000000026C8: E05C1000 8005A832
	buffer_load_dwordx4 v[172:175], v51, s[20:23], 0 offen     // 0000000026D0: E05C1000 8005AC33
	buffer_load_dwordx4 v[176:179], v52, s[20:23], 0 offen     // 0000000026D8: E05C1000 8005B034
	buffer_load_dwordx4 v[180:183], v53, s[20:23], 0 offen     // 0000000026E0: E05C1000 8005B435
	buffer_load_dwordx4 v[184:187], v54, s[20:23], 0 offen     // 0000000026E8: E05C1000 8005B836
	buffer_load_dwordx4 v[188:191], v55, s[20:23], 0 offen     // 0000000026F0: E05C1000 8005BC37
	buffer_load_dword v72, v36, s[20:23], 0 offen              // 0000000026F8: E0501000 80054824
	buffer_load_dword v73, v36, s[20:23], 0 offen offset:64    // 000000002700: E0501040 80054924
	buffer_load_dword v74, v37, s[20:23], 0 offen              // 000000002708: E0501000 80054A25
	buffer_load_dword v75, v37, s[20:23], 0 offen offset:64    // 000000002710: E0501040 80054B25
	buffer_load_dword v76, v38, s[20:23], 0 offen              // 000000002718: E0501000 80054C26
	buffer_load_dword v77, v38, s[20:23], 0 offen offset:64    // 000000002720: E0501040 80054D26
	buffer_load_dword v78, v39, s[20:23], 0 offen              // 000000002728: E0501000 80054E27
	buffer_load_dword v79, v39, s[20:23], 0 offen offset:64    // 000000002730: E0501040 80054F27
	buffer_load_dword v24, v26, s[24:27], 0 offen              // 000000002738: E0501000 8006181A
	v_add_u32_e32 v26, s73, v26                                // 000000002740: 68343449
	v_lshrrev_b32_e32 v32, 4, v0                               // 000000002744: 20400084
	v_lshlrev_b32_e32 v33, 2, v32                              // 000000002748: 24424082
	v_and_b32_e32 v32, 15, v0                                  // 00000000274C: 2640008F
	v_lshrrev_b32_e32 v34, 2, v32                              // 000000002750: 20444082
	v_mul_i32_i24_e32 v34, 0x140, v34                          // 000000002754: 0C4444FF 00000140
	v_add_u32_e32 v33, v34, v33                                // 00000000275C: 68424322
	v_and_b32_e32 v32, 3, v0                                   // 000000002760: 26400083
	v_mul_i32_i24_e32 v34, 0x508, v32                          // 000000002764: 0C4440FF 00000508
	v_add_u32_e32 v33, v34, v33                                // 00000000276C: 68424322
	v_lshlrev_b32_e32 v1, 2, v33                               // 000000002770: 24024282
	s_waitcnt vmcnt(25) lgkmcnt(0)                             // 000000002774: BF8C4079
	s_barrier                                                  // 000000002778: BF8A0000
	ds_read_b128 a[0:3], v1                                    // 00000000277C: DBFE0000 00000001
	ds_read_b128 a[4:7], v1 offset:64                          // 000000002784: DBFE0040 04000001
	ds_read_b128 a[8:11], v1 offset:128                        // 00000000278C: DBFE0080 08000001
	ds_read_b128 a[12:15], v1 offset:192                       // 000000002794: DBFE00C0 0C000001
	ds_read_b128 a[16:19], v1 offset:256                       // 00000000279C: DBFE0100 10000001
	ds_read_b128 a[20:23], v1 offset:320                       // 0000000027A4: DBFE0140 14000001
	ds_read_b128 a[24:27], v1 offset:384                       // 0000000027AC: DBFE0180 18000001
	ds_read_b128 a[28:31], v1 offset:448                       // 0000000027B4: DBFE01C0 1C000001
	ds_read_b128 a[32:35], v1 offset:512                       // 0000000027BC: DBFE0200 20000001
	ds_read_b128 a[36:39], v1 offset:576                       // 0000000027C4: DBFE0240 24000001
	ds_read_b128 a[40:43], v1 offset:640                       // 0000000027CC: DBFE0280 28000001
	ds_read_b128 a[44:47], v1 offset:704                       // 0000000027D4: DBFE02C0 2C000001
	ds_read_b128 a[48:51], v1 offset:768                       // 0000000027DC: DBFE0300 30000001
	ds_read_b128 a[52:55], v1 offset:832                       // 0000000027E4: DBFE0340 34000001
	ds_read_b128 a[56:59], v1 offset:896                       // 0000000027EC: DBFE0380 38000001
	ds_read_b128 a[60:63], v1 offset:960                       // 0000000027F4: DBFE03C0 3C000001
	ds_read_b128 a[64:67], v1 offset:1024                      // 0000000027FC: DBFE0400 40000001
	ds_read_b128 a[68:71], v1 offset:1088                      // 000000002804: DBFE0440 44000001
	v_mov_b32_e32 v96, 0                                       // 00000000280C: 7EC00280
	v_mov_b32_e32 v97, 0                                       // 000000002810: 7EC20280
	v_mov_b32_e32 v98, 0                                       // 000000002814: 7EC40280
	v_mov_b32_e32 v99, 0                                       // 000000002818: 7EC60280
	v_mov_b32_e32 v100, 0                                      // 00000000281C: 7EC80280
	v_mov_b32_e32 v101, 0                                      // 000000002820: 7ECA0280
	v_mov_b32_e32 v102, 0                                      // 000000002824: 7ECC0280
	v_mov_b32_e32 v103, 0                                      // 000000002828: 7ECE0280
	v_mov_b32_e32 v104, 0                                      // 00000000282C: 7ED00280
	v_mov_b32_e32 v105, 0                                      // 000000002830: 7ED20280
	v_mov_b32_e32 v106, 0                                      // 000000002834: 7ED40280
	v_mov_b32_e32 v107, 0                                      // 000000002838: 7ED60280
	v_mov_b32_e32 v108, 0                                      // 00000000283C: 7ED80280
	v_mov_b32_e32 v109, 0                                      // 000000002840: 7EDA0280
	v_mov_b32_e32 v110, 0                                      // 000000002844: 7EDC0280
	v_mov_b32_e32 v111, 0                                      // 000000002848: 7EDE0280
	v_mov_b32_e32 v112, 0                                      // 00000000284C: 7EE00280
	v_mov_b32_e32 v113, 0                                      // 000000002850: 7EE20280
	v_mov_b32_e32 v114, 0                                      // 000000002854: 7EE40280
	v_mov_b32_e32 v115, 0                                      // 000000002858: 7EE60280
	v_mov_b32_e32 v116, 0                                      // 00000000285C: 7EE80280
	v_mov_b32_e32 v117, 0                                      // 000000002860: 7EEA0280
	v_mov_b32_e32 v118, 0                                      // 000000002864: 7EEC0280
	v_mov_b32_e32 v119, 0                                      // 000000002868: 7EEE0280
	v_mov_b32_e32 v120, 0                                      // 00000000286C: 7EF00280
	v_mov_b32_e32 v121, 0                                      // 000000002870: 7EF20280
	v_mov_b32_e32 v122, 0                                      // 000000002874: 7EF40280
	v_mov_b32_e32 v123, 0                                      // 000000002878: 7EF60280
	v_mov_b32_e32 v124, 0                                      // 00000000287C: 7EF80280
	v_mov_b32_e32 v125, 0                                      // 000000002880: 7EFA0280
	v_mov_b32_e32 v126, 0                                      // 000000002884: 7EFC0280
	v_mov_b32_e32 v127, 0                                      // 000000002888: 7EFE0280
	v_lshrrev_b32_e32 v32, 4, v0                               // 00000000288C: 20400084
	v_mul_i32_i24_e32 v33, 0x200, v32                          // 000000002890: 0C4240FF 00000200
	v_and_b32_e32 v32, 15, v0                                  // 000000002898: 2640008F
	v_mul_i32_i24_e32 v34, 4, v32                              // 00000000289C: 0C444084
	v_add_u32_e32 v20, v34, v33                                // 0000000028A0: 68284322
	s_mul_i32 s56, s7, 64                                      // 0000000028A4: 9238C007
	v_add_u32_e32 v20, s56, v20                                // 0000000028A8: 68282838
	v_lshlrev_b32_e32 v20, 2, v20                              // 0000000028AC: 24282882
	v_lshrrev_b32_e32 v32, 4, v0                               // 0000000028B0: 20400084
	v_mul_i32_i24_e32 v33, 0x110, v32                          // 0000000028B4: 0C4240FF 00000110
	v_and_b32_e32 v34, 15, v0                                  // 0000000028BC: 2644008F
	v_add_u32_e32 v21, v34, v33                                // 0000000028C0: 682A4322
	s_and_b32 s56, 1, s7                                       // 0000000028C4: 86380781
	s_mul_i32 s56, s56, 0x88                                   // 0000000028C8: 9238FF38 00000088
	s_lshr_b32 s57, s7, 1                                      // 0000000028D0: 8F398107
	s_mul_i32 s57, s57, 0x440                                  // 0000000028D4: 9239FF39 00000440
	s_add_u32 s56, s56, s57                                    // 0000000028DC: 80383938
	v_add_u32_e32 v21, s56, v21                                // 0000000028E0: 682A2A38
	v_lshlrev_b32_e32 v21, 2, v21                              // 0000000028E4: 242A2A82
	v_lshrrev_b32_e32 v32, 4, v0                               // 0000000028E8: 20400084
	v_mul_i32_i24_e32 v33, 4, v32                              // 0000000028EC: 0C424084
	v_and_b32_e32 v32, 15, v0                                  // 0000000028F0: 2640008F
	v_and_b32_e32 v34, 3, v32                                  // 0000000028F4: 26444083
	v_mul_i32_i24_e32 v34, 0x808, v34                          // 0000000028F8: 0C4444FF 00000808
	v_add_u32_e32 v22, v34, v33                                // 000000002900: 682C4322
	v_lshrrev_b32_e32 v32, 2, v32                              // 000000002904: 20404082
	v_mul_i32_i24_e32 v32, 0x100, v32                          // 000000002908: 0C4040FF 00000100
	v_add_u32_e32 v22, v32, v22                                // 000000002910: 682C2D20
	s_and_b32 s56, 1, s7                                       // 000000002914: 86380781
	s_mul_i32 s56, s56, 0x400                                  // 000000002918: 9238FF38 00000400
	v_add_u32_e32 v22, s56, v22                                // 000000002920: 682C2C38
	v_lshlrev_b32_e32 v22, 2, v22                              // 000000002924: 242C2C82
	v_lshrrev_b32_e32 v32, 4, v0                               // 000000002928: 20400084
	v_mul_i32_i24_e32 v33, 4, v32                              // 00000000292C: 0C424084
	v_and_b32_e32 v34, 15, v0                                  // 000000002930: 2644008F
	v_mul_i32_i24_e32 v34, 34, v34                             // 000000002934: 0C4444A2
	v_add_u32_e32 v23, v34, v33                                // 000000002938: 682E4322
	s_mul_i32 s56, s7, 0x220                                   // 00000000293C: 9238FF07 00000220
	v_add_u32_e32 v23, s56, v23                                // 000000002944: 682E2E38
	v_lshlrev_b32_e32 v23, 2, v23                              // 000000002948: 242E2E82
	v_mul_u32_u24_dpp v40, v25, v10 row_newbcast:0 row_mask:0xf bank_mask:0xf// 00000000294C: 105014FA FF015019
	v_mul_u32_u24_dpp v41, v25, v10 row_newbcast:1 row_mask:0xf bank_mask:0xf// 000000002954: 105214FA FF015119
	v_mul_u32_u24_dpp v42, v25, v10 row_newbcast:2 row_mask:0xf bank_mask:0xf// 00000000295C: 105414FA FF015219
	v_mul_u32_u24_dpp v43, v25, v10 row_newbcast:3 row_mask:0xf bank_mask:0xf// 000000002964: 105614FA FF015319
	v_mul_u32_u24_dpp v44, v25, v10 row_newbcast:4 row_mask:0xf bank_mask:0xf// 00000000296C: 105814FA FF015419
	v_mul_u32_u24_dpp v45, v25, v10 row_newbcast:5 row_mask:0xf bank_mask:0xf// 000000002974: 105A14FA FF015519
	v_mul_u32_u24_dpp v46, v25, v10 row_newbcast:6 row_mask:0xf bank_mask:0xf// 00000000297C: 105C14FA FF015619
	v_mul_u32_u24_dpp v47, v25, v10 row_newbcast:7 row_mask:0xf bank_mask:0xf// 000000002984: 105E14FA FF015719
	v_mul_u32_u24_dpp v48, v25, v10 row_newbcast:8 row_mask:0xf bank_mask:0xf// 00000000298C: 106014FA FF015819
	v_mul_u32_u24_dpp v49, v25, v10 row_newbcast:9 row_mask:0xf bank_mask:0xf// 000000002994: 106214FA FF015919
	v_mul_u32_u24_dpp v50, v25, v10 row_newbcast:10 row_mask:0xf bank_mask:0xf// 00000000299C: 106414FA FF015A19
	v_mul_u32_u24_dpp v51, v25, v10 row_newbcast:11 row_mask:0xf bank_mask:0xf// 0000000029A4: 106614FA FF015B19
	v_mul_u32_u24_dpp v52, v25, v10 row_newbcast:12 row_mask:0xf bank_mask:0xf// 0000000029AC: 106814FA FF015C19
	v_mul_u32_u24_dpp v53, v25, v10 row_newbcast:13 row_mask:0xf bank_mask:0xf// 0000000029B4: 106A14FA FF015D19
	v_mul_u32_u24_dpp v54, v25, v10 row_newbcast:14 row_mask:0xf bank_mask:0xf// 0000000029BC: 106C14FA FF015E19
	v_mul_u32_u24_dpp v55, v25, v10 row_newbcast:15 row_mask:0xf bank_mask:0xf// 0000000029C4: 106E14FA FF015F19
	s_mov_b32 s56, m0                                          // 0000000029CC: BEB8007C
	s_set_gpr_idx_on s51, gpr_idx(SRC0)                        // 0000000029D0: BF110133
	v_add_u32_e32 v36, v40, v3                                 // 0000000029D4: 68480728
	v_add_u32_e32 v37, v41, v3                                 // 0000000029D8: 684A0729
	v_add_u32_e32 v38, v42, v3                                 // 0000000029DC: 684C072A
	v_add_u32_e32 v39, v43, v3                                 // 0000000029E0: 684E072B
	s_set_gpr_idx_off                                          // 0000000029E4: BF9C0000
	s_mov_b32 m0, s56                                          // 0000000029E8: BEFC0038
	v_add_u32_e32 v40, v40, v2                                 // 0000000029EC: 68500528
	v_add_u32_e32 v41, v41, v2                                 // 0000000029F0: 68520529
	v_add_u32_e32 v42, v42, v2                                 // 0000000029F4: 6854052A
	v_add_u32_e32 v43, v43, v2                                 // 0000000029F8: 6856052B
	v_add_u32_e32 v44, v44, v2                                 // 0000000029FC: 6858052C
	v_add_u32_e32 v45, v45, v2                                 // 000000002A00: 685A052D
	v_add_u32_e32 v46, v46, v2                                 // 000000002A04: 685C052E
	v_add_u32_e32 v47, v47, v2                                 // 000000002A08: 685E052F
	v_add_u32_e32 v48, v48, v2                                 // 000000002A0C: 68600530
	v_add_u32_e32 v49, v49, v2                                 // 000000002A10: 68620531
	v_add_u32_e32 v50, v50, v2                                 // 000000002A14: 68640532
	v_add_u32_e32 v51, v51, v2                                 // 000000002A18: 68660533
	v_add_u32_e32 v52, v52, v2                                 // 000000002A1C: 68680534
	v_add_u32_e32 v53, v53, v2                                 // 000000002A20: 686A0535
	v_add_u32_e32 v54, v54, v2                                 // 000000002A24: 686C0536
	v_add_u32_e32 v55, v55, v2                                 // 000000002A28: 686E0537
	buffer_load_dword v25, v26, s[24:27], 0 offen              // 000000002A2C: E0501000 8006191A
	v_add_u32_e32 v26, s73, v26                                // 000000002A34: 68343449
	buffer_load_dwordx4 v[192:195], v40, s[20:23], 0 offen     // 000000002A38: E05C1000 8005C028
	buffer_load_dwordx4 v[196:199], v41, s[20:23], 0 offen     // 000000002A40: E05C1000 8005C429
	buffer_load_dwordx4 v[200:203], v42, s[20:23], 0 offen     // 000000002A48: E05C1000 8005C82A
	buffer_load_dwordx4 v[204:207], v43, s[20:23], 0 offen     // 000000002A50: E05C1000 8005CC2B
	buffer_load_dwordx4 v[208:211], v44, s[20:23], 0 offen     // 000000002A58: E05C1000 8005D02C
	buffer_load_dwordx4 v[212:215], v45, s[20:23], 0 offen     // 000000002A60: E05C1000 8005D42D
	buffer_load_dwordx4 v[216:219], v46, s[20:23], 0 offen     // 000000002A68: E05C1000 8005D82E
	buffer_load_dwordx4 v[220:223], v47, s[20:23], 0 offen     // 000000002A70: E05C1000 8005DC2F
	buffer_load_dword v80, v36, s[20:23], 0 offen              // 000000002A78: E0501000 80055024
	buffer_load_dword v81, v36, s[20:23], 0 offen offset:64    // 000000002A80: E0501040 80055124
	buffer_load_dword v82, v37, s[20:23], 0 offen              // 000000002A88: E0501000 80055225
	buffer_load_dword v83, v37, s[20:23], 0 offen offset:64    // 000000002A90: E0501040 80055325
	buffer_load_dword v84, v38, s[20:23], 0 offen              // 000000002A98: E0501000 80055426
	buffer_load_dword v85, v38, s[20:23], 0 offen offset:64    // 000000002AA0: E0501040 80055526
	buffer_load_dword v86, v39, s[20:23], 0 offen              // 000000002AA8: E0501000 80055627
	buffer_load_dword v87, v39, s[20:23], 0 offen offset:64    // 000000002AB0: E0501040 80055727
	buffer_load_dwordx4 v[224:227], v48, s[20:23], 0 offen     // 000000002AB8: E05C1000 8005E030
	buffer_load_dwordx4 v[228:231], v49, s[20:23], 0 offen     // 000000002AC0: E05C1000 8005E431
	buffer_load_dwordx4 v[232:235], v50, s[20:23], 0 offen     // 000000002AC8: E05C1000 8005E832
	buffer_load_dwordx4 v[236:239], v51, s[20:23], 0 offen     // 000000002AD0: E05C1000 8005EC33
	buffer_load_dwordx4 v[240:243], v52, s[20:23], 0 offen     // 000000002AD8: E05C1000 8005F034
	buffer_load_dwordx4 v[244:247], v53, s[20:23], 0 offen     // 000000002AE0: E05C1000 8005F435
	buffer_load_dwordx4 v[248:251], v54, s[20:23], 0 offen     // 000000002AE8: E05C1000 8005F836
	buffer_load_dwordx4 v[252:255], v55, s[20:23], 0 offen     // 000000002AF0: E05C1000 8005FC37
	s_waitcnt vmcnt(25) lgkmcnt(0)                             // 000000002AF8: BF8C4079
	s_barrier                                                  // 000000002AFC: BF8A0000
	v_mul_u32_u24_dpp v40, v24, v10 row_newbcast:0 row_mask:0xf bank_mask:0xf// 000000002B00: 105014FA FF015018
	v_mul_u32_u24_dpp v41, v24, v10 row_newbcast:1 row_mask:0xf bank_mask:0xf// 000000002B08: 105214FA FF015118
	v_mul_u32_u24_dpp v42, v24, v10 row_newbcast:2 row_mask:0xf bank_mask:0xf// 000000002B10: 105414FA FF015218
	v_mul_u32_u24_dpp v43, v24, v10 row_newbcast:3 row_mask:0xf bank_mask:0xf// 000000002B18: 105614FA FF015318
	v_mul_u32_u24_dpp v44, v24, v10 row_newbcast:4 row_mask:0xf bank_mask:0xf// 000000002B20: 105814FA FF015418
	v_mul_u32_u24_dpp v45, v24, v10 row_newbcast:5 row_mask:0xf bank_mask:0xf// 000000002B28: 105A14FA FF015518
	v_mul_u32_u24_dpp v46, v24, v10 row_newbcast:6 row_mask:0xf bank_mask:0xf// 000000002B30: 105C14FA FF015618
	v_mul_u32_u24_dpp v47, v24, v10 row_newbcast:7 row_mask:0xf bank_mask:0xf// 000000002B38: 105E14FA FF015718
	v_mul_u32_u24_dpp v48, v24, v10 row_newbcast:8 row_mask:0xf bank_mask:0xf// 000000002B40: 106014FA FF015818
	v_mul_u32_u24_dpp v49, v24, v10 row_newbcast:9 row_mask:0xf bank_mask:0xf// 000000002B48: 106214FA FF015918
	v_mul_u32_u24_dpp v50, v24, v10 row_newbcast:10 row_mask:0xf bank_mask:0xf// 000000002B50: 106414FA FF015A18
	v_mul_u32_u24_dpp v51, v24, v10 row_newbcast:11 row_mask:0xf bank_mask:0xf// 000000002B58: 106614FA FF015B18
	v_mul_u32_u24_dpp v52, v24, v10 row_newbcast:12 row_mask:0xf bank_mask:0xf// 000000002B60: 106814FA FF015C18
	v_mul_u32_u24_dpp v53, v24, v10 row_newbcast:13 row_mask:0xf bank_mask:0xf// 000000002B68: 106A14FA FF015D18
	v_mul_u32_u24_dpp v54, v24, v10 row_newbcast:14 row_mask:0xf bank_mask:0xf// 000000002B70: 106C14FA FF015E18
	v_mul_u32_u24_dpp v55, v24, v10 row_newbcast:15 row_mask:0xf bank_mask:0xf// 000000002B78: 106E14FA FF015F18
	s_mov_b32 s56, m0                                          // 000000002B80: BEB8007C
	s_set_gpr_idx_on s51, gpr_idx(SRC0)                        // 000000002B84: BF110133
	v_add_u32_e32 v36, v40, v3                                 // 000000002B88: 68480728
	v_add_u32_e32 v37, v41, v3                                 // 000000002B8C: 684A0729
	v_add_u32_e32 v38, v42, v3                                 // 000000002B90: 684C072A
	v_add_u32_e32 v39, v43, v3                                 // 000000002B94: 684E072B
	s_set_gpr_idx_off                                          // 000000002B98: BF9C0000
	s_mov_b32 m0, s56                                          // 000000002B9C: BEFC0038
	v_add_u32_e32 v40, v40, v2                                 // 000000002BA0: 68500528
	v_add_u32_e32 v41, v41, v2                                 // 000000002BA4: 68520529
	v_add_u32_e32 v42, v42, v2                                 // 000000002BA8: 6854052A
	v_add_u32_e32 v43, v43, v2                                 // 000000002BAC: 6856052B
	v_add_u32_e32 v44, v44, v2                                 // 000000002BB0: 6858052C
	v_add_u32_e32 v45, v45, v2                                 // 000000002BB4: 685A052D
	v_add_u32_e32 v46, v46, v2                                 // 000000002BB8: 685C052E
	v_add_u32_e32 v47, v47, v2                                 // 000000002BBC: 685E052F
	v_add_u32_e32 v48, v48, v2                                 // 000000002BC0: 68600530
	v_add_u32_e32 v49, v49, v2                                 // 000000002BC4: 68620531
	v_add_u32_e32 v50, v50, v2                                 // 000000002BC8: 68640532
	v_add_u32_e32 v51, v51, v2                                 // 000000002BCC: 68660533
	v_add_u32_e32 v52, v52, v2                                 // 000000002BD0: 68680534
	v_add_u32_e32 v53, v53, v2                                 // 000000002BD4: 686A0535
	v_add_u32_e32 v54, v54, v2                                 // 000000002BD8: 686C0536
	v_add_u32_e32 v55, v55, v2                                 // 000000002BDC: 686E0537
	ds_write_b128 v20, v[128:131]                              // 000000002BE0: D9BE0000 00008014
	ds_write_b128 v20, v[132:135] offset:8224                  // 000000002BE8: D9BE2020 00008414
	ds_write_b128 v20, v[136:139] offset:16448                 // 000000002BF0: D9BE4040 00008814
	ds_write_b128 v20, v[140:143] offset:24672                 // 000000002BF8: D9BE6060 00008C14
	ds_write_b128 v20, v[144:147] offset:1024                  // 000000002C00: D9BE0400 00009014
	ds_write_b128 v20, v[148:151] offset:9248                  // 000000002C08: D9BE2420 00009414
	ds_write_b128 v20, v[152:155] offset:17472                 // 000000002C10: D9BE4440 00009814
	ds_write_b128 v20, v[156:159] offset:25696                 // 000000002C18: D9BE6460 00009C14
	ds_write_b32 v21, v72 offset:32896                         // 000000002C20: D81A8080 00004815
	ds_write_b32 v21, v73 offset:32960                         // 000000002C28: D81A80C0 00004915
	ds_write_b32 v21, v74 offset:33032                         // 000000002C30: D81A8108 00004A15
	ds_write_b32 v21, v75 offset:33096                         // 000000002C38: D81A8148 00004B15
	ds_write_b32 v21, v76 offset:33168                         // 000000002C40: D81A8190 00004C15
	ds_write_b32 v21, v77 offset:33232                         // 000000002C48: D81A81D0 00004D15
	ds_write_b32 v21, v78 offset:33304                         // 000000002C50: D81A8218 00004E15
	ds_write_b32 v21, v79 offset:33368                         // 000000002C58: D81A8258 00004F15
	s_waitcnt lgkmcnt(0)                                       // 000000002C60: BF8CC07F
	s_barrier                                                  // 000000002C64: BF8A0000
	s_cmp_lt_i32 s7, 2                                         // 000000002C68: BF048207
	s_cbranch_scc0 label_02FC                                  // 000000002C6C: BF840020
	ds_read_b128 a[72:75], v22                                 // 000000002C70: DBFE0000 48000016
	ds_read_b128 a[76:79], v22 offset:64                       // 000000002C78: DBFE0040 4C000016
	ds_read_b128 a[80:83], v22 offset:128                      // 000000002C80: DBFE0080 50000016
	ds_read_b128 a[84:87], v22 offset:192                      // 000000002C88: DBFE00C0 54000016
	ds_read_b128 a[88:91], v22 offset:256                      // 000000002C90: DBFE0100 58000016
	ds_read_b128 a[92:95], v22 offset:320                      // 000000002C98: DBFE0140 5C000016
	ds_read_b128 a[96:99], v22 offset:384                      // 000000002CA0: DBFE0180 60000016
	ds_read_b128 a[100:103], v22 offset:448                    // 000000002CA8: DBFE01C0 64000016
	ds_read_b128 a[104:107], v22 offset:512                    // 000000002CB0: DBFE0200 68000016
	ds_read_b128 a[108:111], v22 offset:576                    // 000000002CB8: DBFE0240 6C000016
	ds_read_b128 a[112:115], v22 offset:640                    // 000000002CC0: DBFE0280 70000016
	ds_read_b128 a[116:119], v22 offset:704                    // 000000002CC8: DBFE02C0 74000016
	ds_read_b128 a[120:123], v22 offset:768                    // 000000002CD0: DBFE0300 78000016
	ds_read_b128 a[124:127], v22 offset:832                    // 000000002CD8: DBFE0340 7C000016
	ds_read_b128 a[128:131], v22 offset:896                    // 000000002CE0: DBFE0380 80000016
	ds_read_b128 a[132:135], v22 offset:960                    // 000000002CE8: DBFE03C0 84000016

0000000000002cf0 <label_02FC>:
	s_waitcnt lgkmcnt(0)                                       // 000000002CF0: BF8CC07F
	s_barrier                                                  // 000000002CF4: BF8A0000
	ds_write_b128 v20, v[160:163]                              // 000000002CF8: D9BE0000 0000A014
	ds_write_b128 v20, v[164:167] offset:8224                  // 000000002D00: D9BE2020 0000A414
	ds_write_b128 v20, v[168:171] offset:16448                 // 000000002D08: D9BE4040 0000A814
	ds_write_b128 v20, v[172:175] offset:24672                 // 000000002D10: D9BE6060 0000AC14
	ds_write_b128 v20, v[176:179] offset:1024                  // 000000002D18: D9BE0400 0000B014
	ds_write_b128 v20, v[180:183] offset:9248                  // 000000002D20: D9BE2420 0000B414
	ds_write_b128 v20, v[184:187] offset:17472                 // 000000002D28: D9BE4440 0000B814
	ds_write_b128 v20, v[188:191] offset:25696                 // 000000002D30: D9BE6460 0000BC14
	s_waitcnt lgkmcnt(0)                                       // 000000002D38: BF8CC07F
	s_barrier                                                  // 000000002D3C: BF8A0000
	ds_read_b64 a[136:137], v23 offset:32896                   // 000000002D40: DAEC8080 88000017
	ds_read_b64 a[138:139], v23 offset:32904                   // 000000002D48: DAEC8088 8A000017
	ds_read_b64 a[140:141], v23 offset:32960                   // 000000002D50: DAEC80C0 8C000017
	ds_read_b64 a[142:143], v23 offset:32968                   // 000000002D58: DAEC80C8 8E000017
	s_cmp_lt_i32 s7, 2                                         // 000000002D60: BF048207
	s_cbranch_scc1 label_033A                                  // 000000002D64: BF850020
	ds_read_b128 a[72:75], v22                                 // 000000002D68: DBFE0000 48000016
	ds_read_b128 a[76:79], v22 offset:64                       // 000000002D70: DBFE0040 4C000016
	ds_read_b128 a[80:83], v22 offset:128                      // 000000002D78: DBFE0080 50000016
	ds_read_b128 a[84:87], v22 offset:192                      // 000000002D80: DBFE00C0 54000016
	ds_read_b128 a[88:91], v22 offset:256                      // 000000002D88: DBFE0100 58000016
	ds_read_b128 a[92:95], v22 offset:320                      // 000000002D90: DBFE0140 5C000016
	ds_read_b128 a[96:99], v22 offset:384                      // 000000002D98: DBFE0180 60000016
	ds_read_b128 a[100:103], v22 offset:448                    // 000000002DA0: DBFE01C0 64000016
	ds_read_b128 a[104:107], v22 offset:512                    // 000000002DA8: DBFE0200 68000016
	ds_read_b128 a[108:111], v22 offset:576                    // 000000002DB0: DBFE0240 6C000016
	ds_read_b128 a[112:115], v22 offset:640                    // 000000002DB8: DBFE0280 70000016
	ds_read_b128 a[116:119], v22 offset:704                    // 000000002DC0: DBFE02C0 74000016
	ds_read_b128 a[120:123], v22 offset:768                    // 000000002DC8: DBFE0300 78000016
	ds_read_b128 a[124:127], v22 offset:832                    // 000000002DD0: DBFE0340 7C000016
	ds_read_b128 a[128:131], v22 offset:896                    // 000000002DD8: DBFE0380 80000016
	ds_read_b128 a[132:135], v22 offset:960                    // 000000002DE0: DBFE03C0 84000016

0000000000002de8 <label_033A>:
	s_waitcnt lgkmcnt(0)                                       // 000000002DE8: BF8CC07F
	s_barrier                                                  // 000000002DEC: BF8A0000
	v_perm_b32 v56, v132, v128, s53                            // 000000002DF0: D1ED0038 00D70184
	v_perm_b32 v57, v132, v128, s52                            // 000000002DF8: D1ED0039 00D30184
	v_perm_b32 v58, v140, v136, s53                            // 000000002E00: D1ED003A 00D7118C
	v_perm_b32 v59, v140, v136, s52                            // 000000002E08: D1ED003B 00D3118C
	v_perm_b32 v60, v148, v144, s53                            // 000000002E10: D1ED003C 00D72194
	v_perm_b32 v61, v148, v144, s52                            // 000000002E18: D1ED003D 00D32194
	v_perm_b32 v62, v156, v152, s53                            // 000000002E20: D1ED003E 00D7319C
	v_perm_b32 v63, v156, v152, s52                            // 000000002E28: D1ED003F 00D3319C
	v_accvgpr_write_b32 a144, v56                              // 000000002E30: D3D94090 18000138
	v_accvgpr_write_b32 a152, v57                              // 000000002E38: D3D94098 18000139
	v_accvgpr_write_b32 a145, v58                              // 000000002E40: D3D94091 1800013A
	v_accvgpr_write_b32 a153, v59                              // 000000002E48: D3D94099 1800013B
	v_accvgpr_write_b32 a146, v60                              // 000000002E50: D3D94092 1800013C
	v_accvgpr_write_b32 a154, v61                              // 000000002E58: D3D9409A 1800013D
	v_accvgpr_write_b32 a147, v62                              // 000000002E60: D3D94093 1800013E
	v_accvgpr_write_b32 a155, v63                              // 000000002E68: D3D9409B 1800013F
	v_perm_b32 v56, v164, v160, s53                            // 000000002E70: D1ED0038 00D741A4
	v_perm_b32 v57, v164, v160, s52                            // 000000002E78: D1ED0039 00D341A4
	v_perm_b32 v58, v172, v168, s53                            // 000000002E80: D1ED003A 00D751AC
	v_perm_b32 v59, v172, v168, s52                            // 000000002E88: D1ED003B 00D351AC
	v_perm_b32 v60, v180, v176, s53                            // 000000002E90: D1ED003C 00D761B4
	v_perm_b32 v61, v180, v176, s52                            // 000000002E98: D1ED003D 00D361B4
	v_perm_b32 v62, v188, v184, s53                            // 000000002EA0: D1ED003E 00D771BC
	v_perm_b32 v63, v188, v184, s52                            // 000000002EA8: D1ED003F 00D371BC
	v_accvgpr_write_b32 a148, v56                              // 000000002EB0: D3D94094 18000138
	v_accvgpr_write_b32 a156, v57                              // 000000002EB8: D3D9409C 18000139
	v_accvgpr_write_b32 a149, v58                              // 000000002EC0: D3D94095 1800013A
	v_accvgpr_write_b32 a157, v59                              // 000000002EC8: D3D9409D 1800013B
	v_accvgpr_write_b32 a150, v60                              // 000000002ED0: D3D94096 1800013C
	v_accvgpr_write_b32 a158, v61                              // 000000002ED8: D3D9409E 1800013D
	v_accvgpr_write_b32 a151, v62                              // 000000002EE0: D3D94097 1800013E
	v_accvgpr_write_b32 a159, v63                              // 000000002EE8: D3D9409F 1800013F
	v_perm_b32 v56, v133, v129, s53                            // 000000002EF0: D1ED0038 00D70385
	v_perm_b32 v57, v133, v129, s52                            // 000000002EF8: D1ED0039 00D30385
	v_perm_b32 v58, v141, v137, s53                            // 000000002F00: D1ED003A 00D7138D
	v_perm_b32 v59, v141, v137, s52                            // 000000002F08: D1ED003B 00D3138D
	v_perm_b32 v60, v149, v145, s53                            // 000000002F10: D1ED003C 00D72395
	v_perm_b32 v61, v149, v145, s52                            // 000000002F18: D1ED003D 00D32395
	v_perm_b32 v62, v157, v153, s53                            // 000000002F20: D1ED003E 00D7339D
	v_perm_b32 v63, v157, v153, s52                            // 000000002F28: D1ED003F 00D3339D
	v_accvgpr_write_b32 a160, v56                              // 000000002F30: D3D940A0 18000138
	v_accvgpr_write_b32 a168, v57                              // 000000002F38: D3D940A8 18000139
	v_accvgpr_write_b32 a161, v58                              // 000000002F40: D3D940A1 1800013A
	v_accvgpr_write_b32 a169, v59                              // 000000002F48: D3D940A9 1800013B
	v_accvgpr_write_b32 a162, v60                              // 000000002F50: D3D940A2 1800013C
	v_accvgpr_write_b32 a170, v61                              // 000000002F58: D3D940AA 1800013D
	v_accvgpr_write_b32 a163, v62                              // 000000002F60: D3D940A3 1800013E
	v_accvgpr_write_b32 a171, v63                              // 000000002F68: D3D940AB 1800013F
	v_perm_b32 v56, v165, v161, s53                            // 000000002F70: D1ED0038 00D743A5
	v_perm_b32 v57, v165, v161, s52                            // 000000002F78: D1ED0039 00D343A5
	v_perm_b32 v58, v173, v169, s53                            // 000000002F80: D1ED003A 00D753AD
	v_perm_b32 v59, v173, v169, s52                            // 000000002F88: D1ED003B 00D353AD
	v_perm_b32 v60, v181, v177, s53                            // 000000002F90: D1ED003C 00D763B5
	v_perm_b32 v61, v181, v177, s52                            // 000000002F98: D1ED003D 00D363B5
	v_perm_b32 v62, v189, v185, s53                            // 000000002FA0: D1ED003E 00D773BD
	v_perm_b32 v63, v189, v185, s52                            // 000000002FA8: D1ED003F 00D373BD
	v_accvgpr_write_b32 a164, v56                              // 000000002FB0: D3D940A4 18000138
	v_accvgpr_write_b32 a172, v57                              // 000000002FB8: D3D940AC 18000139
	v_accvgpr_write_b32 a165, v58                              // 000000002FC0: D3D940A5 1800013A
	v_accvgpr_write_b32 a173, v59                              // 000000002FC8: D3D940AD 1800013B
	v_accvgpr_write_b32 a166, v60                              // 000000002FD0: D3D940A6 1800013C
	v_accvgpr_write_b32 a174, v61                              // 000000002FD8: D3D940AE 1800013D
	v_accvgpr_write_b32 a167, v62                              // 000000002FE0: D3D940A7 1800013E
	v_accvgpr_write_b32 a175, v63                              // 000000002FE8: D3D940AF 1800013F
	v_perm_b32 v56, v134, v130, s53                            // 000000002FF0: D1ED0038 00D70586
	v_perm_b32 v57, v134, v130, s52                            // 000000002FF8: D1ED0039 00D30586
	v_perm_b32 v58, v142, v138, s53                            // 000000003000: D1ED003A 00D7158E
	v_perm_b32 v59, v142, v138, s52                            // 000000003008: D1ED003B 00D3158E
	v_perm_b32 v60, v150, v146, s53                            // 000000003010: D1ED003C 00D72596
	v_perm_b32 v61, v150, v146, s52                            // 000000003018: D1ED003D 00D32596
	v_perm_b32 v62, v158, v154, s53                            // 000000003020: D1ED003E 00D7359E
	v_perm_b32 v63, v158, v154, s52                            // 000000003028: D1ED003F 00D3359E
	v_accvgpr_write_b32 a176, v56                              // 000000003030: D3D940B0 18000138
	v_accvgpr_write_b32 a184, v57                              // 000000003038: D3D940B8 18000139
	v_accvgpr_write_b32 a177, v58                              // 000000003040: D3D940B1 1800013A
	v_accvgpr_write_b32 a185, v59                              // 000000003048: D3D940B9 1800013B
	v_accvgpr_write_b32 a178, v60                              // 000000003050: D3D940B2 1800013C
	v_accvgpr_write_b32 a186, v61                              // 000000003058: D3D940BA 1800013D
	v_accvgpr_write_b32 a179, v62                              // 000000003060: D3D940B3 1800013E
	v_accvgpr_write_b32 a187, v63                              // 000000003068: D3D940BB 1800013F
	v_perm_b32 v56, v166, v162, s53                            // 000000003070: D1ED0038 00D745A6
	v_perm_b32 v57, v166, v162, s52                            // 000000003078: D1ED0039 00D345A6
	v_perm_b32 v58, v174, v170, s53                            // 000000003080: D1ED003A 00D755AE
	v_perm_b32 v59, v174, v170, s52                            // 000000003088: D1ED003B 00D355AE
	v_perm_b32 v60, v182, v178, s53                            // 000000003090: D1ED003C 00D765B6
	v_perm_b32 v61, v182, v178, s52                            // 000000003098: D1ED003D 00D365B6
	v_perm_b32 v62, v190, v186, s53                            // 0000000030A0: D1ED003E 00D775BE
	v_perm_b32 v63, v190, v186, s52                            // 0000000030A8: D1ED003F 00D375BE
	v_accvgpr_write_b32 a180, v56                              // 0000000030B0: D3D940B4 18000138
	v_accvgpr_write_b32 a188, v57                              // 0000000030B8: D3D940BC 18000139
	v_accvgpr_write_b32 a181, v58                              // 0000000030C0: D3D940B5 1800013A
	v_accvgpr_write_b32 a189, v59                              // 0000000030C8: D3D940BD 1800013B
	v_accvgpr_write_b32 a182, v60                              // 0000000030D0: D3D940B6 1800013C
	v_accvgpr_write_b32 a190, v61                              // 0000000030D8: D3D940BE 1800013D
	v_accvgpr_write_b32 a183, v62                              // 0000000030E0: D3D940B7 1800013E
	v_accvgpr_write_b32 a191, v63                              // 0000000030E8: D3D940BF 1800013F
	v_perm_b32 v56, v135, v131, s53                            // 0000000030F0: D1ED0038 00D70787
	v_perm_b32 v57, v135, v131, s52                            // 0000000030F8: D1ED0039 00D30787
	v_perm_b32 v58, v143, v139, s53                            // 000000003100: D1ED003A 00D7178F
	v_perm_b32 v59, v143, v139, s52                            // 000000003108: D1ED003B 00D3178F
	v_perm_b32 v60, v151, v147, s53                            // 000000003110: D1ED003C 00D72797
	v_perm_b32 v61, v151, v147, s52                            // 000000003118: D1ED003D 00D32797
	v_perm_b32 v62, v159, v155, s53                            // 000000003120: D1ED003E 00D7379F
	v_perm_b32 v63, v159, v155, s52                            // 000000003128: D1ED003F 00D3379F
	v_accvgpr_write_b32 a192, v56                              // 000000003130: D3D940C0 18000138
	v_accvgpr_write_b32 a200, v57                              // 000000003138: D3D940C8 18000139
	v_accvgpr_write_b32 a193, v58                              // 000000003140: D3D940C1 1800013A
	v_accvgpr_write_b32 a201, v59                              // 000000003148: D3D940C9 1800013B
	v_accvgpr_write_b32 a194, v60                              // 000000003150: D3D940C2 1800013C
	v_accvgpr_write_b32 a202, v61                              // 000000003158: D3D940CA 1800013D
	v_accvgpr_write_b32 a195, v62                              // 000000003160: D3D940C3 1800013E
	v_accvgpr_write_b32 a203, v63                              // 000000003168: D3D940CB 1800013F
	v_perm_b32 v56, v167, v163, s53                            // 000000003170: D1ED0038 00D747A7
	v_perm_b32 v57, v167, v163, s52                            // 000000003178: D1ED0039 00D347A7
	v_perm_b32 v58, v175, v171, s53                            // 000000003180: D1ED003A 00D757AF
	v_perm_b32 v59, v175, v171, s52                            // 000000003188: D1ED003B 00D357AF
	v_perm_b32 v60, v183, v179, s53                            // 000000003190: D1ED003C 00D767B7
	v_perm_b32 v61, v183, v179, s52                            // 000000003198: D1ED003D 00D367B7
	v_perm_b32 v62, v191, v187, s53                            // 0000000031A0: D1ED003E 00D777BF
	v_perm_b32 v63, v191, v187, s52                            // 0000000031A8: D1ED003F 00D377BF
	v_accvgpr_write_b32 a196, v56                              // 0000000031B0: D3D940C4 18000138
	v_accvgpr_write_b32 a204, v57                              // 0000000031B8: D3D940CC 18000139
	v_accvgpr_write_b32 a197, v58                              // 0000000031C0: D3D940C5 1800013A
	v_accvgpr_write_b32 a205, v59                              // 0000000031C8: D3D940CD 1800013B
	v_accvgpr_write_b32 a198, v60                              // 0000000031D0: D3D940C6 1800013C
	v_accvgpr_write_b32 a206, v61                              // 0000000031D8: D3D940CE 1800013D
	v_accvgpr_write_b32 a199, v62                              // 0000000031E0: D3D940C7 1800013E
	v_accvgpr_write_b32 a207, v63                              // 0000000031E8: D3D940CF 1800013F
	s_cmp_lt_u32 s71, 1                                        // 0000000031F0: BF0A8147
	s_cbranch_scc1 label_101B                                  // 0000000031F4: BF850BDD
	s_cmp_lt_i32 s7, 2                                         // 0000000031F8: BF048207
	s_cbranch_scc0 label_0A2E                                  // 0000000031FC: BF8405EE

0000000000003200 <label_0440>:
	s_waitcnt vmcnt(8) lgkmcnt(0)                              // 000000003200: BF8C0078
	s_barrier                                                  // 000000003204: BF8A0000
	v_mfma_f32_16x16x16_bf16 v[88:91], a[72:73], a[0:1], 0     // 000000003208: D3E10058 1A020148
	ds_write_b128 v20, v[192:195]                              // 000000003210: D9BE0000 0000C014
	v_mfma_f32_16x16x16_bf16 v[88:91], a[74:75], a[2:3], v[88:91]// 000000003218: D3E10058 1D62054A
	buffer_load_dwordx4 v[128:131], v40, s[20:23], 0 offen     // 000000003220: E05C1000 80058028
	v_mfma_f32_16x16x16_bf16 v[88:91], a[76:77], a[4:5], v[88:91]// 000000003228: D3E10058 1D62094C
	ds_write_b128 v20, v[196:199] offset:8224                  // 000000003230: D9BE2020 0000C414
	v_mfma_f32_16x16x16_bf16 v[88:91], a[78:79], a[6:7], v[88:91]// 000000003238: D3E10058 1D620D4E
	buffer_load_dword v24, v26, s[24:27], 0 offen              // 000000003240: E0501000 8006181A
	v_mfma_f32_16x16x16_bf16 v[88:91], a[80:81], a[8:9], v[88:91]// 000000003248: D3E10058 1D621150
	ds_write_b128 v20, v[200:203] offset:16448                 // 000000003250: D9BE4040 0000C814
	v_mfma_f32_16x16x16_bf16 v[88:91], a[82:83], a[10:11], v[88:91]// 000000003258: D3E10058 1D621552
	buffer_load_dwordx4 v[132:135], v41, s[20:23], 0 offen     // 000000003260: E05C1000 80058429
	v_mfma_f32_16x16x16_bf16 v[88:91], a[84:85], a[12:13], v[88:91]// 000000003268: D3E10058 1D621954
	ds_write_b128 v20, v[204:207] offset:24672                 // 000000003270: D9BE6060 0000CC14
	v_mfma_f32_16x16x16_bf16 v[88:91], a[86:87], a[14:15], v[88:91]// 000000003278: D3E10058 1D621D56
	v_mfma_f32_16x16x16_bf16 v[88:91], a[88:89], a[16:17], v[88:91]// 000000003280: D3E10058 1D622158
	ds_write_b128 v20, v[208:211] offset:1024                  // 000000003288: D9BE0400 0000D014
	v_mfma_f32_16x16x16_bf16 v[88:91], a[90:91], a[18:19], v[88:91]// 000000003290: D3E10058 1D62255A
	buffer_load_dwordx4 v[136:139], v42, s[20:23], 0 offen     // 000000003298: E05C1000 8005882A
	v_mfma_f32_16x16x16_bf16 v[88:91], a[92:93], a[20:21], v[88:91]// 0000000032A0: D3E10058 1D62295C
	ds_write_b128 v20, v[212:215] offset:9248                  // 0000000032A8: D9BE2420 0000D414
	v_mfma_f32_16x16x16_bf16 v[88:91], a[94:95], a[22:23], v[88:91]// 0000000032B0: D3E10058 1D622D5E
	v_mfma_f32_16x16x16_bf16 v[88:91], a[96:97], a[24:25], v[88:91]// 0000000032B8: D3E10058 1D623160
	ds_write_b128 v20, v[216:219] offset:17472                 // 0000000032C0: D9BE4440 0000D814
	v_mfma_f32_16x16x16_bf16 v[88:91], a[98:99], a[26:27], v[88:91]// 0000000032C8: D3E10058 1D623562
	buffer_load_dwordx4 v[140:143], v43, s[20:23], 0 offen     // 0000000032D0: E05C1000 80058C2B
	v_mfma_f32_16x16x16_bf16 v[88:91], a[100:101], a[28:29], v[88:91]// 0000000032D8: D3E10058 1D623964
	ds_write_b128 v20, v[220:223] offset:25696                 // 0000000032E0: D9BE6460 0000DC14
	v_mfma_f32_16x16x16_bf16 v[88:91], a[102:103], a[30:31], v[88:91]// 0000000032E8: D3E10058 1D623D66
	v_mfma_f32_16x16x16_bf16 v[88:91], a[104:105], a[32:33], v[88:91]// 0000000032F0: D3E10058 1D624168
	ds_write_b32 v21, v80 offset:32896                         // 0000000032F8: D81A8080 00005015
	ds_write_b32 v21, v81 offset:32960                         // 000000003300: D81A80C0 00005115
	v_mfma_f32_16x16x16_bf16 v[88:91], a[106:107], a[34:35], v[88:91]// 000000003308: D3E10058 1D62456A
	buffer_load_dwordx4 v[144:147], v44, s[20:23], 0 offen     // 000000003310: E05C1000 8005902C
	v_mfma_f32_16x16x16_bf16 v[88:91], a[108:109], a[36:37], v[88:91]// 000000003318: D3E10058 1D62496C
	ds_write_b32 v21, v82 offset:33032                         // 000000003320: D81A8108 00005215
	ds_write_b32 v21, v83 offset:33096                         // 000000003328: D81A8148 00005315
	v_mfma_f32_16x16x16_bf16 v[88:91], a[110:111], a[38:39], v[88:91]// 000000003330: D3E10058 1D624D6E
	v_mfma_f32_16x16x16_bf16 v[88:91], a[112:113], a[40:41], v[88:91]// 000000003338: D3E10058 1D625170
	ds_write_b32 v21, v84 offset:33168                         // 000000003340: D81A8190 00005415
	ds_write_b32 v21, v85 offset:33232                         // 000000003348: D81A81D0 00005515
	v_mfma_f32_16x16x16_bf16 v[88:91], a[114:115], a[42:43], v[88:91]// 000000003350: D3E10058 1D625572
	buffer_load_dwordx4 v[148:151], v45, s[20:23], 0 offen     // 000000003358: E05C1000 8005942D
	v_mfma_f32_16x16x16_bf16 v[88:91], a[116:117], a[44:45], v[88:91]// 000000003360: D3E10058 1D625974
	ds_write_b32 v21, v86 offset:33304                         // 000000003368: D81A8218 00005615
	ds_write_b32 v21, v87 offset:33368                         // 000000003370: D81A8258 00005715
	v_mfma_f32_16x16x16_bf16 v[88:91], a[118:119], a[46:47], v[88:91]// 000000003378: D3E10058 1D625D76
	s_waitcnt lgkmcnt(8)                                       // 000000003380: BF8CC87F
	s_barrier                                                  // 000000003384: BF8A0000
	v_mfma_f32_16x16x16_bf16 v[88:91], a[120:121], a[48:49], v[88:91]// 000000003388: D3E10058 1D626178
	ds_read_b128 a[72:75], v22                                 // 000000003390: DBFE0000 48000016
	v_mfma_f32_16x16x16_bf16 v[88:91], a[122:123], a[50:51], v[88:91]// 000000003398: D3E10058 1D62657A
	buffer_load_dwordx4 v[152:155], v46, s[20:23], 0 offen     // 0000000033A0: E05C1000 8005982E
	ds_read_b128 a[76:79], v22 offset:64                       // 0000000033A8: DBFE0040 4C000016
	v_mfma_f32_16x16x16_bf16 v[88:91], a[124:125], a[52:53], v[88:91]// 0000000033B0: D3E10058 1D62697C
	ds_read_b128 a[80:83], v22 offset:128                      // 0000000033B8: DBFE0080 50000016
	v_mfma_f32_16x16x16_bf16 v[88:91], a[126:127], a[54:55], v[88:91]// 0000000033C0: D3E10058 1D626D7E
	ds_read_b128 a[84:87], v22 offset:192                      // 0000000033C8: DBFE00C0 54000016
	v_mfma_f32_16x16x16_bf16 v[88:91], a[128:129], a[56:57], v[88:91]// 0000000033D0: D3E10058 1D627180
	ds_read_b128 a[88:91], v22 offset:256                      // 0000000033D8: DBFE0100 58000016
	v_mfma_f32_16x16x16_bf16 v[88:91], a[130:131], a[58:59], v[88:91]// 0000000033E0: D3E10058 1D627582
	buffer_load_dwordx4 v[156:159], v47, s[20:23], 0 offen     // 0000000033E8: E05C1000 80059C2F
	ds_read_b128 a[92:95], v22 offset:320                      // 0000000033F0: DBFE0140 5C000016
	v_mfma_f32_16x16x16_bf16 v[88:91], a[132:133], a[60:61], v[88:91]// 0000000033F8: D3E10058 1D627984
	ds_read_b128 a[96:99], v22 offset:384                      // 000000003400: DBFE0180 60000016
	v_mfma_f32_16x16x16_bf16 v[88:91], a[134:135], a[62:63], v[88:91]// 000000003408: D3E10058 1D627D86
	ds_read_b128 a[100:103], v22 offset:448                    // 000000003410: DBFE01C0 64000016
	v_mfma_f32_16x16x16_bf16 v[88:91], a[136:137], a[64:65], v[88:91]// 000000003418: D3E10058 1D628188
	ds_read_b128 a[104:107], v22 offset:512                    // 000000003420: DBFE0200 68000016
	v_mfma_f32_16x16x16_bf16 v[88:91], a[138:139], a[66:67], v[88:91]// 000000003428: D3E10058 1D62858A
	buffer_load_dword v72, v36, s[20:23], 0 offen              // 000000003430: E0501000 80054824
	buffer_load_dword v73, v36, s[20:23], 0 offen offset:64    // 000000003438: E0501040 80054924
	ds_read_b128 a[108:111], v22 offset:576                    // 000000003440: DBFE0240 6C000016
	v_mfma_f32_16x16x16_bf16 v[88:91], a[140:141], a[68:69], v[88:91]// 000000003448: D3E10058 1D62898C
	ds_read_b128 a[112:115], v22 offset:640                    // 000000003450: DBFE0280 70000016
	v_mfma_f32_16x16x16_bf16 v[88:91], a[142:143], a[70:71], v[88:91]// 000000003458: D3E10058 1D628D8E
	buffer_load_dword v74, v37, s[20:23], 0 offen              // 000000003460: E0501000 80054A25
	buffer_load_dword v75, v37, s[20:23], 0 offen offset:64    // 000000003468: E0501040 80054B25
	ds_read_b128 a[116:119], v22 offset:704                    // 000000003470: DBFE02C0 74000016
	ds_read_b128 a[120:123], v22 offset:768                    // 000000003478: DBFE0300 78000016
	ds_read_b128 a[124:127], v22 offset:832                    // 000000003480: DBFE0340 7C000016
	ds_read_b128 a[128:131], v22 offset:896                    // 000000003488: DBFE0380 80000016
	ds_read_b128 a[132:135], v22 offset:960                    // 000000003490: DBFE03C0 84000016
	v_add_u32_e32 v26, s73, v26                                // 000000003498: 68343449
	buffer_load_dword v76, v38, s[20:23], 0 offen              // 00000000349C: E0501000 80054C26
	buffer_load_dword v77, v38, s[20:23], 0 offen offset:64    // 0000000034A4: E0501040 80054D26
	s_nop 8                                                    // 0000000034AC: BF800008
	v_mov_b32_e32 v8, v88                                      // 0000000034B0: 7E100358
	v_max3_f32 v8, v88, v89, v8                                // 0000000034B4: D1D30008 0422B358
	v_max3_f32 v8, v90, v91, v8                                // 0000000034BC: D1D30008 0422B75A
	ds_write_b32 v5, v8 offset:41600                           // 0000000034C4: D81AA280 00000805
	buffer_load_dword v78, v39, s[20:23], 0 offen              // 0000000034CC: E0501000 80054E27
	buffer_load_dword v79, v39, s[20:23], 0 offen offset:64    // 0000000034D4: E0501040 80054F27
	s_waitcnt lgkmcnt(0)                                       // 0000000034DC: BF8CC07F
	s_barrier                                                  // 0000000034E0: BF8A0000
	ds_read_b32 v56, v4 offset:41600                           // 0000000034E4: D86CA280 38000004
	buffer_load_dwordx4 v[160:163], v48, s[20:23], 0 offen     // 0000000034EC: E05C1000 8005A030
	ds_read_b32 v57, v4 offset:41664                           // 0000000034F4: D86CA2C0 39000004
	ds_read_b32 v58, v4 offset:41728                           // 0000000034FC: D86CA300 3A000004
	ds_read_b32 v59, v4 offset:41792                           // 000000003504: D86CA340 3B000004
	ds_read_b32 v60, v4 offset:41856                           // 00000000350C: D86CA380 3C000004
	ds_read_b32 v61, v4 offset:41920                           // 000000003514: D86CA3C0 3D000004
	ds_read_b32 v62, v4 offset:41984                           // 00000000351C: D86CA400 3E000004
	ds_read_b32 v63, v4 offset:42048                           // 000000003524: D86CA440 3F000004
	ds_read_b32 v64, v4 offset:42112                           // 00000000352C: D86CA480 40000004
	buffer_load_dwordx4 v[164:167], v49, s[20:23], 0 offen     // 000000003534: E05C1000 8005A431
	ds_read_b32 v65, v4 offset:42176                           // 00000000353C: D86CA4C0 41000004
	ds_read_b32 v66, v4 offset:42240                           // 000000003544: D86CA500 42000004
	ds_read_b32 v67, v4 offset:42304                           // 00000000354C: D86CA540 43000004
	ds_read_b32 v68, v4 offset:42368                           // 000000003554: D86CA580 44000004
	ds_read_b32 v69, v4 offset:42432                           // 00000000355C: D86CA5C0 45000004
	ds_read_b32 v70, v4 offset:42496                           // 000000003564: D86CA600 46000004
	ds_read_b32 v71, v4 offset:42560                           // 00000000356C: D86CA640 47000004
	buffer_load_dwordx4 v[168:171], v50, s[20:23], 0 offen     // 000000003574: E05C1000 8005A832
	s_waitcnt lgkmcnt(0)                                       // 00000000357C: BF8CC07F
	v_max3_f32 v8, v56, v57, v8                                // 000000003580: D1D30008 04227338
	v_max3_f32 v8, v58, v59, v8                                // 000000003588: D1D30008 0422773A
	v_max3_f32 v8, v60, v61, v8                                // 000000003590: D1D30008 04227B3C
	v_max3_f32 v8, v62, v63, v8                                // 000000003598: D1D30008 04227F3E
	v_max3_f32 v8, v64, v65, v8                                // 0000000035A0: D1D30008 04228340
	v_max3_f32 v8, v66, v67, v8                                // 0000000035A8: D1D30008 04228742
	v_max3_f32 v8, v68, v69, v8                                // 0000000035B0: D1D30008 04228B44
	v_max3_f32 v8, v70, v71, v8                                // 0000000035B8: D1D30008 04228F46
	buffer_load_dwordx4 v[172:175], v51, s[20:23], 0 offen     // 0000000035C0: E05C1000 8005AC33
	v_cmp_eq_u32_e64 s[32:33], v11, v12                        // 0000000035C8: D0CA0020 0002190B
	v_max_f32_e32 v13, v8, v12                                 // 0000000035D0: 161A1908
	v_sub_f32_e32 v18, v12, v13                                // 0000000035D4: 04241B0C
	v_cndmask_b32_e64 v18, v18, 0, s[32:33]                    // 0000000035D8: D1000012 00810112
	v_mov_b32_e32 v12, v13                                     // 0000000035E0: 7E18030D
	v_mul_f32_e32 v9, s5, v13                                  // 0000000035E4: 0A121A05
	v_mul_f32_e32 v18, s5, v18                                 // 0000000035E8: 0A242405
	v_exp_f32_e32 v18, v18                                     // 0000000035EC: 7E244112
	buffer_load_dwordx4 v[176:179], v52, s[20:23], 0 offen     // 0000000035F0: E05C1000 8005B034
	v_fma_f32 v88, v88, s5, -v9                                // 0000000035F8: D1CB0058 84240B58
	v_fma_f32 v89, v89, s5, -v9                                // 000000003600: D1CB0059 84240B59
	v_fma_f32 v90, v90, s5, -v9                                // 000000003608: D1CB005A 84240B5A
	v_fma_f32 v91, v91, s5, -v9                                // 000000003610: D1CB005B 84240B5B
	v_exp_f32_e32 v88, v88                                     // 000000003618: 7EB04158
	v_exp_f32_e32 v89, v89                                     // 00000000361C: 7EB24159
	v_exp_f32_e32 v90, v90                                     // 000000003620: 7EB4415A
	v_exp_f32_e32 v91, v91                                     // 000000003624: 7EB6415B
	buffer_load_dwordx4 v[180:183], v53, s[20:23], 0 offen     // 000000003628: E05C1000 8005B435
	v_mul_f32_e32 v14, v18, v14                                // 000000003630: 0A1C1D12
	v_mov_b32_e32 v15, v88                                     // 000000003634: 7E1E0358
	v_add_f32_e32 v15, v89, v15                                // 000000003638: 021E1F59
	v_add_f32_e32 v15, v90, v15                                // 00000000363C: 021E1F5A
	v_add_f32_e32 v15, v91, v15                                // 000000003640: 021E1F5B
	v_add_f32_e32 v14, v15, v14                                // 000000003644: 021C1D0F
	buffer_load_dwordx4 v[184:187], v54, s[20:23], 0 offen     // 000000003648: E05C1000 8005B836
	v_cmp_u_f32_e64 s[32:33], v88, v88                         // 000000003650: D0480020 0002B158
	v_add3_u32 v28, v88, v31, 1                                // 000000003658: D1FF001C 02063F58
	v_cndmask_b32_e64 v32, v28, v30, s[32:33]                  // 000000003660: D1000020 00823D1C
	v_cmp_u_f32_e64 s[32:33], v89, v89                         // 000000003668: D0480020 0002B359
	v_add3_u32 v28, v89, v31, 1                                // 000000003670: D1FF001C 02063F59
	v_cndmask_b32_e64 v33, v28, v30, s[32:33]                  // 000000003678: D1000021 00823D1C
	v_perm_b32 v88, v33, v32, s52                              // 000000003680: D1ED0058 00D24121
	v_cmp_u_f32_e64 s[32:33], v90, v90                         // 000000003688: D0480020 0002B55A
	v_add3_u32 v28, v90, v31, 1                                // 000000003690: D1FF001C 02063F5A
	v_cndmask_b32_e64 v32, v28, v30, s[32:33]                  // 000000003698: D1000020 00823D1C
	v_cmp_u_f32_e64 s[32:33], v91, v91                         // 0000000036A0: D0480020 0002B75B
	v_add3_u32 v28, v91, v31, 1                                // 0000000036A8: D1FF001C 02063F5B
	v_cndmask_b32_e64 v33, v28, v30, s[32:33]                  // 0000000036B0: D1000021 00823D1C
	v_perm_b32 v89, v33, v32, s52                              // 0000000036B8: D1ED0059 00D24121
	ds_write_b64 v7, v[88:89] offset:42624                     // 0000000036C0: D89AA680 00005807
	buffer_load_dwordx4 v[188:191], v55, s[20:23], 0 offen     // 0000000036C8: E05C1000 8005BC37
	s_waitcnt lgkmcnt(0)                                       // 0000000036D0: BF8CC07F
	s_barrier                                                  // 0000000036D4: BF8A0000
	ds_read_b64 v[88:89], v6 offset:42624                      // 0000000036D8: D8ECA680 58000006
	ds_read_b64 v[90:91], v6 offset:42752                      // 0000000036E0: D8ECA700 5A000006
	ds_read_b64 v[92:93], v6 offset:43648                      // 0000000036E8: D8ECAA80 5C000006
	ds_read_b64 v[94:95], v6 offset:43776                      // 0000000036F0: D8ECAB00 5E000006
	v_mul_u32_u24_dpp v40, v25, v10 row_newbcast:0 row_mask:0xf bank_mask:0xf// 0000000036F8: 105014FA FF015019
	v_mul_u32_u24_dpp v41, v25, v10 row_newbcast:1 row_mask:0xf bank_mask:0xf// 000000003700: 105214FA FF015119
	v_mul_u32_u24_dpp v42, v25, v10 row_newbcast:2 row_mask:0xf bank_mask:0xf// 000000003708: 105414FA FF015219
	v_mul_u32_u24_dpp v43, v25, v10 row_newbcast:3 row_mask:0xf bank_mask:0xf// 000000003710: 105614FA FF015319
	v_mul_u32_u24_dpp v44, v25, v10 row_newbcast:4 row_mask:0xf bank_mask:0xf// 000000003718: 105814FA FF015419
	v_mul_u32_u24_dpp v45, v25, v10 row_newbcast:5 row_mask:0xf bank_mask:0xf// 000000003720: 105A14FA FF015519
	v_mul_u32_u24_dpp v46, v25, v10 row_newbcast:6 row_mask:0xf bank_mask:0xf// 000000003728: 105C14FA FF015619
	v_mul_u32_u24_dpp v47, v25, v10 row_newbcast:7 row_mask:0xf bank_mask:0xf// 000000003730: 105E14FA FF015719
	v_mul_u32_u24_dpp v48, v25, v10 row_newbcast:8 row_mask:0xf bank_mask:0xf// 000000003738: 106014FA FF015819
	v_mul_u32_u24_dpp v49, v25, v10 row_newbcast:9 row_mask:0xf bank_mask:0xf// 000000003740: 106214FA FF015919
	v_mul_u32_u24_dpp v50, v25, v10 row_newbcast:10 row_mask:0xf bank_mask:0xf// 000000003748: 106414FA FF015A19
	v_mul_u32_u24_dpp v51, v25, v10 row_newbcast:11 row_mask:0xf bank_mask:0xf// 000000003750: 106614FA FF015B19
	v_mul_u32_u24_dpp v52, v25, v10 row_newbcast:12 row_mask:0xf bank_mask:0xf// 000000003758: 106814FA FF015C19
	v_mul_u32_u24_dpp v53, v25, v10 row_newbcast:13 row_mask:0xf bank_mask:0xf// 000000003760: 106A14FA FF015D19
	v_mul_u32_u24_dpp v54, v25, v10 row_newbcast:14 row_mask:0xf bank_mask:0xf// 000000003768: 106C14FA FF015E19
	v_mul_u32_u24_dpp v55, v25, v10 row_newbcast:15 row_mask:0xf bank_mask:0xf// 000000003770: 106E14FA FF015F19
	s_mov_b32 s56, m0                                          // 000000003778: BEB8007C
	s_set_gpr_idx_on s51, gpr_idx(SRC0)                        // 00000000377C: BF110133
	v_add_u32_e32 v36, v40, v3                                 // 000000003780: 68480728
	v_add_u32_e32 v37, v41, v3                                 // 000000003784: 684A0729
	v_add_u32_e32 v38, v42, v3                                 // 000000003788: 684C072A
	v_add_u32_e32 v39, v43, v3                                 // 00000000378C: 684E072B
	s_set_gpr_idx_off                                          // 000000003790: BF9C0000
	s_mov_b32 m0, s56                                          // 000000003794: BEFC0038
	v_add_u32_e32 v40, v40, v2                                 // 000000003798: 68500528
	v_add_u32_e32 v41, v41, v2                                 // 00000000379C: 68520529
	v_add_u32_e32 v42, v42, v2                                 // 0000000037A0: 6854052A
	v_add_u32_e32 v43, v43, v2                                 // 0000000037A4: 6856052B
	v_add_u32_e32 v44, v44, v2                                 // 0000000037A8: 6858052C
	v_add_u32_e32 v45, v45, v2                                 // 0000000037AC: 685A052D
	v_add_u32_e32 v46, v46, v2                                 // 0000000037B0: 685C052E
	v_add_u32_e32 v47, v47, v2                                 // 0000000037B4: 685E052F
	v_add_u32_e32 v48, v48, v2                                 // 0000000037B8: 68600530
	v_add_u32_e32 v49, v49, v2                                 // 0000000037BC: 68620531
	v_add_u32_e32 v50, v50, v2                                 // 0000000037C0: 68640532
	v_add_u32_e32 v51, v51, v2                                 // 0000000037C4: 68660533
	v_add_u32_e32 v52, v52, v2                                 // 0000000037C8: 68680534
	v_add_u32_e32 v53, v53, v2                                 // 0000000037CC: 686A0535
	v_add_u32_e32 v54, v54, v2                                 // 0000000037D0: 686C0536
	v_add_u32_e32 v55, v55, v2                                 // 0000000037D4: 686E0537
	s_waitcnt lgkmcnt(0)                                       // 0000000037D8: BF8CC07F
	v_mul_f32_e32 v96, v18, v96                                // 0000000037DC: 0AC0C112
	v_mul_f32_e32 v97, v18, v97                                // 0000000037E0: 0AC2C312
	v_mul_f32_e32 v98, v18, v98                                // 0000000037E4: 0AC4C512
	v_mul_f32_e32 v99, v18, v99                                // 0000000037E8: 0AC6C712
	v_mul_f32_e32 v100, v18, v100                              // 0000000037EC: 0AC8C912
	v_mul_f32_e32 v101, v18, v101                              // 0000000037F0: 0ACACB12
	v_mul_f32_e32 v102, v18, v102                              // 0000000037F4: 0ACCCD12
	v_mul_f32_e32 v103, v18, v103                              // 0000000037F8: 0ACECF12
	v_mul_f32_e32 v104, v18, v104                              // 0000000037FC: 0AD0D112
	v_mul_f32_e32 v105, v18, v105                              // 000000003800: 0AD2D312
	v_mul_f32_e32 v106, v18, v106                              // 000000003804: 0AD4D512
	v_mul_f32_e32 v107, v18, v107                              // 000000003808: 0AD6D712
	v_mul_f32_e32 v108, v18, v108                              // 00000000380C: 0AD8D912
	v_mul_f32_e32 v109, v18, v109                              // 000000003810: 0ADADB12
	v_mul_f32_e32 v110, v18, v110                              // 000000003814: 0ADCDD12
	v_mul_f32_e32 v111, v18, v111                              // 000000003818: 0ADEDF12
	v_mul_f32_e32 v112, v18, v112                              // 00000000381C: 0AE0E112
	v_mul_f32_e32 v113, v18, v113                              // 000000003820: 0AE2E312
	v_mul_f32_e32 v114, v18, v114                              // 000000003824: 0AE4E512
	v_mul_f32_e32 v115, v18, v115                              // 000000003828: 0AE6E712
	v_mul_f32_e32 v116, v18, v116                              // 00000000382C: 0AE8E912
	v_mul_f32_e32 v117, v18, v117                              // 000000003830: 0AEAEB12
	v_mul_f32_e32 v118, v18, v118                              // 000000003834: 0AECED12
	v_mul_f32_e32 v119, v18, v119                              // 000000003838: 0AEEEF12
	v_mul_f32_e32 v120, v18, v120                              // 00000000383C: 0AF0F112
	v_mul_f32_e32 v121, v18, v121                              // 000000003840: 0AF2F312
	v_mul_f32_e32 v122, v18, v122                              // 000000003844: 0AF4F512
	v_mul_f32_e32 v123, v18, v123                              // 000000003848: 0AF6F712
	v_mul_f32_e32 v124, v18, v124                              // 00000000384C: 0AF8F912
	v_mul_f32_e32 v125, v18, v125                              // 000000003850: 0AFAFB12
	v_mul_f32_e32 v126, v18, v126                              // 000000003854: 0AFCFD12
	v_mul_f32_e32 v127, v18, v127                              // 000000003858: 0AFEFF12
	s_waitcnt vmcnt(25)                                        // 00000000385C: BF8C4F79
	v_mfma_f32_16x16x16_bf16 v[96:99], a[144:145], v[88:89], v[96:99]// 000000003860: D3E10060 0D82B190
	v_mfma_f32_16x16x16_bf16 v[96:99], a[146:147], v[90:91], v[96:99]// 000000003868: D3E10060 0D82B592
	ds_write_b128 v20, v[224:227]                              // 000000003870: D9BE0000 0000E014
	v_mfma_f32_16x16x16_bf16 v[96:99], a[148:149], v[92:93], v[96:99]// 000000003878: D3E10060 0D82B994
	v_mfma_f32_16x16x16_bf16 v[96:99], a[150:151], v[94:95], v[96:99]// 000000003880: D3E10060 0D82BD96
	ds_write_b128 v20, v[228:231] offset:8224                  // 000000003888: D9BE2020 0000E414
	v_mfma_f32_16x16x16_bf16 v[100:103], a[152:153], v[88:89], v[100:103]// 000000003890: D3E10064 0D92B198
	v_mfma_f32_16x16x16_bf16 v[100:103], a[154:155], v[90:91], v[100:103]// 000000003898: D3E10064 0D92B59A
	ds_write_b128 v20, v[232:235] offset:16448                 // 0000000038A0: D9BE4040 0000E814
	v_mfma_f32_16x16x16_bf16 v[100:103], a[156:157], v[92:93], v[100:103]// 0000000038A8: D3E10064 0D92B99C
	v_mfma_f32_16x16x16_bf16 v[100:103], a[158:159], v[94:95], v[100:103]// 0000000038B0: D3E10064 0D92BD9E
	ds_write_b128 v20, v[236:239] offset:24672                 // 0000000038B8: D9BE6060 0000EC14
	v_mfma_f32_16x16x16_bf16 v[104:107], a[160:161], v[88:89], v[104:107]// 0000000038C0: D3E10068 0DA2B1A0
	v_mfma_f32_16x16x16_bf16 v[104:107], a[162:163], v[90:91], v[104:107]// 0000000038C8: D3E10068 0DA2B5A2
	ds_write_b128 v20, v[240:243] offset:1024                  // 0000000038D0: D9BE0400 0000F014
	v_mfma_f32_16x16x16_bf16 v[104:107], a[164:165], v[92:93], v[104:107]// 0000000038D8: D3E10068 0DA2B9A4
	v_mfma_f32_16x16x16_bf16 v[104:107], a[166:167], v[94:95], v[104:107]// 0000000038E0: D3E10068 0DA2BDA6
	ds_write_b128 v20, v[244:247] offset:9248                  // 0000000038E8: D9BE2420 0000F414
	v_mfma_f32_16x16x16_bf16 v[108:111], a[168:169], v[88:89], v[108:111]// 0000000038F0: D3E1006C 0DB2B1A8
	v_mfma_f32_16x16x16_bf16 v[108:111], a[170:171], v[90:91], v[108:111]// 0000000038F8: D3E1006C 0DB2B5AA
	ds_write_b128 v20, v[248:251] offset:17472                 // 000000003900: D9BE4440 0000F814
	v_mfma_f32_16x16x16_bf16 v[108:111], a[172:173], v[92:93], v[108:111]// 000000003908: D3E1006C 0DB2B9AC
	v_mfma_f32_16x16x16_bf16 v[108:111], a[174:175], v[94:95], v[108:111]// 000000003910: D3E1006C 0DB2BDAE
	ds_write_b128 v20, v[252:255] offset:25696                 // 000000003918: D9BE6460 0000FC14
	v_mfma_f32_16x16x16_bf16 v[112:115], a[176:177], v[88:89], v[112:115]// 000000003920: D3E10070 0DC2B1B0
	v_mfma_f32_16x16x16_bf16 v[112:115], a[178:179], v[90:91], v[112:115]// 000000003928: D3E10070 0DC2B5B2
	ds_read_b64 a[136:137], v23 offset:32896                   // 000000003930: DAEC8080 88000017
	ds_read_b64 a[138:139], v23 offset:32904                   // 000000003938: DAEC8088 8A000017
	v_mfma_f32_16x16x16_bf16 v[112:115], a[180:181], v[92:93], v[112:115]// 000000003940: D3E10070 0DC2B9B4
	v_mfma_f32_16x16x16_bf16 v[112:115], a[182:183], v[94:95], v[112:115]// 000000003948: D3E10070 0DC2BDB6
	ds_read_b64 a[140:141], v23 offset:32960                   // 000000003950: DAEC80C0 8C000017
	ds_read_b64 a[142:143], v23 offset:32968                   // 000000003958: DAEC80C8 8E000017
	s_waitcnt lgkmcnt(8)                                       // 000000003960: BF8CC87F
	s_barrier                                                  // 000000003964: BF8A0000
	v_mfma_f32_16x16x16_bf16 v[116:119], a[184:185], v[88:89], v[116:119]// 000000003968: D3E10074 0DD2B1B8
	v_mfma_f32_16x16x16_bf16 v[116:119], a[186:187], v[90:91], v[116:119]// 000000003970: D3E10074 0DD2B5BA
	v_mfma_f32_16x16x16_bf16 v[116:119], a[188:189], v[92:93], v[116:119]// 000000003978: D3E10074 0DD2B9BC
	v_mfma_f32_16x16x16_bf16 v[116:119], a[190:191], v[94:95], v[116:119]// 000000003980: D3E10074 0DD2BDBE
	v_mfma_f32_16x16x16_bf16 v[120:123], a[192:193], v[88:89], v[120:123]// 000000003988: D3E10078 0DE2B1C0
	v_mfma_f32_16x16x16_bf16 v[120:123], a[194:195], v[90:91], v[120:123]// 000000003990: D3E10078 0DE2B5C2
	v_mfma_f32_16x16x16_bf16 v[120:123], a[196:197], v[92:93], v[120:123]// 000000003998: D3E10078 0DE2B9C4
	v_mfma_f32_16x16x16_bf16 v[120:123], a[198:199], v[94:95], v[120:123]// 0000000039A0: D3E10078 0DE2BDC6
	v_mfma_f32_16x16x16_bf16 v[124:127], a[200:201], v[88:89], v[124:127]// 0000000039A8: D3E1007C 0DF2B1C8
	v_mfma_f32_16x16x16_bf16 v[124:127], a[202:203], v[90:91], v[124:127]// 0000000039B0: D3E1007C 0DF2B5CA
	v_mfma_f32_16x16x16_bf16 v[124:127], a[204:205], v[92:93], v[124:127]// 0000000039B8: D3E1007C 0DF2B9CC
	v_mfma_f32_16x16x16_bf16 v[124:127], a[206:207], v[94:95], v[124:127]// 0000000039C0: D3E1007C 0DF2BDCE
	v_perm_b32 v56, v196, v192, s53                            // 0000000039C8: D1ED0038 00D781C4
	v_perm_b32 v57, v196, v192, s52                            // 0000000039D0: D1ED0039 00D381C4
	v_perm_b32 v58, v204, v200, s53                            // 0000000039D8: D1ED003A 00D791CC
	v_perm_b32 v59, v204, v200, s52                            // 0000000039E0: D1ED003B 00D391CC
	v_perm_b32 v60, v212, v208, s53                            // 0000000039E8: D1ED003C 00D7A1D4
	v_perm_b32 v61, v212, v208, s52                            // 0000000039F0: D1ED003D 00D3A1D4
	v_perm_b32 v62, v220, v216, s53                            // 0000000039F8: D1ED003E 00D7B1DC
	v_perm_b32 v63, v220, v216, s52                            // 000000003A00: D1ED003F 00D3B1DC
	v_accvgpr_write_b32 a144, v56                              // 000000003A08: D3D94090 18000138
	v_accvgpr_write_b32 a152, v57                              // 000000003A10: D3D94098 18000139
	v_accvgpr_write_b32 a145, v58                              // 000000003A18: D3D94091 1800013A
	v_accvgpr_write_b32 a153, v59                              // 000000003A20: D3D94099 1800013B
	v_accvgpr_write_b32 a146, v60                              // 000000003A28: D3D94092 1800013C
	v_accvgpr_write_b32 a154, v61                              // 000000003A30: D3D9409A 1800013D
	v_accvgpr_write_b32 a147, v62                              // 000000003A38: D3D94093 1800013E
	v_accvgpr_write_b32 a155, v63                              // 000000003A40: D3D9409B 1800013F
	v_perm_b32 v56, v228, v224, s53                            // 000000003A48: D1ED0038 00D7C1E4
	v_perm_b32 v57, v228, v224, s52                            // 000000003A50: D1ED0039 00D3C1E4
	v_perm_b32 v58, v236, v232, s53                            // 000000003A58: D1ED003A 00D7D1EC
	v_perm_b32 v59, v236, v232, s52                            // 000000003A60: D1ED003B 00D3D1EC
	v_perm_b32 v60, v244, v240, s53                            // 000000003A68: D1ED003C 00D7E1F4
	v_perm_b32 v61, v244, v240, s52                            // 000000003A70: D1ED003D 00D3E1F4
	v_perm_b32 v62, v252, v248, s53                            // 000000003A78: D1ED003E 00D7F1FC
	v_perm_b32 v63, v252, v248, s52                            // 000000003A80: D1ED003F 00D3F1FC
	v_accvgpr_write_b32 a148, v56                              // 000000003A88: D3D94094 18000138
	v_accvgpr_write_b32 a156, v57                              // 000000003A90: D3D9409C 18000139
	v_accvgpr_write_b32 a149, v58                              // 000000003A98: D3D94095 1800013A
	v_accvgpr_write_b32 a157, v59                              // 000000003AA0: D3D9409D 1800013B
	v_accvgpr_write_b32 a150, v60                              // 000000003AA8: D3D94096 1800013C
	v_accvgpr_write_b32 a158, v61                              // 000000003AB0: D3D9409E 1800013D
	v_accvgpr_write_b32 a151, v62                              // 000000003AB8: D3D94097 1800013E
	v_accvgpr_write_b32 a159, v63                              // 000000003AC0: D3D9409F 1800013F
	v_perm_b32 v56, v197, v193, s53                            // 000000003AC8: D1ED0038 00D783C5
	v_perm_b32 v57, v197, v193, s52                            // 000000003AD0: D1ED0039 00D383C5
	v_perm_b32 v58, v205, v201, s53                            // 000000003AD8: D1ED003A 00D793CD
	v_perm_b32 v59, v205, v201, s52                            // 000000003AE0: D1ED003B 00D393CD
	v_perm_b32 v60, v213, v209, s53                            // 000000003AE8: D1ED003C 00D7A3D5
	v_perm_b32 v61, v213, v209, s52                            // 000000003AF0: D1ED003D 00D3A3D5
	v_perm_b32 v62, v221, v217, s53                            // 000000003AF8: D1ED003E 00D7B3DD
	v_perm_b32 v63, v221, v217, s52                            // 000000003B00: D1ED003F 00D3B3DD
	v_accvgpr_write_b32 a160, v56                              // 000000003B08: D3D940A0 18000138
	v_accvgpr_write_b32 a168, v57                              // 000000003B10: D3D940A8 18000139
	v_accvgpr_write_b32 a161, v58                              // 000000003B18: D3D940A1 1800013A
	v_accvgpr_write_b32 a169, v59                              // 000000003B20: D3D940A9 1800013B
	v_accvgpr_write_b32 a162, v60                              // 000000003B28: D3D940A2 1800013C
	v_accvgpr_write_b32 a170, v61                              // 000000003B30: D3D940AA 1800013D
	v_accvgpr_write_b32 a163, v62                              // 000000003B38: D3D940A3 1800013E
	v_accvgpr_write_b32 a171, v63                              // 000000003B40: D3D940AB 1800013F
	v_perm_b32 v56, v229, v225, s53                            // 000000003B48: D1ED0038 00D7C3E5
	v_perm_b32 v57, v229, v225, s52                            // 000000003B50: D1ED0039 00D3C3E5
	v_perm_b32 v58, v237, v233, s53                            // 000000003B58: D1ED003A 00D7D3ED
	v_perm_b32 v59, v237, v233, s52                            // 000000003B60: D1ED003B 00D3D3ED
	v_perm_b32 v60, v245, v241, s53                            // 000000003B68: D1ED003C 00D7E3F5
	v_perm_b32 v61, v245, v241, s52                            // 000000003B70: D1ED003D 00D3E3F5
	v_perm_b32 v62, v253, v249, s53                            // 000000003B78: D1ED003E 00D7F3FD
	v_perm_b32 v63, v253, v249, s52                            // 000000003B80: D1ED003F 00D3F3FD
	v_accvgpr_write_b32 a164, v56                              // 000000003B88: D3D940A4 18000138
	v_accvgpr_write_b32 a172, v57                              // 000000003B90: D3D940AC 18000139
	v_accvgpr_write_b32 a165, v58                              // 000000003B98: D3D940A5 1800013A
	v_accvgpr_write_b32 a173, v59                              // 000000003BA0: D3D940AD 1800013B
	v_accvgpr_write_b32 a166, v60                              // 000000003BA8: D3D940A6 1800013C
	v_accvgpr_write_b32 a174, v61                              // 000000003BB0: D3D940AE 1800013D
	v_accvgpr_write_b32 a167, v62                              // 000000003BB8: D3D940A7 1800013E
	v_accvgpr_write_b32 a175, v63                              // 000000003BC0: D3D940AF 1800013F
	v_perm_b32 v56, v198, v194, s53                            // 000000003BC8: D1ED0038 00D785C6
	v_perm_b32 v57, v198, v194, s52                            // 000000003BD0: D1ED0039 00D385C6
	v_perm_b32 v58, v206, v202, s53                            // 000000003BD8: D1ED003A 00D795CE
	v_perm_b32 v59, v206, v202, s52                            // 000000003BE0: D1ED003B 00D395CE
	v_perm_b32 v60, v214, v210, s53                            // 000000003BE8: D1ED003C 00D7A5D6
	v_perm_b32 v61, v214, v210, s52                            // 000000003BF0: D1ED003D 00D3A5D6
	v_perm_b32 v62, v222, v218, s53                            // 000000003BF8: D1ED003E 00D7B5DE
	v_perm_b32 v63, v222, v218, s52                            // 000000003C00: D1ED003F 00D3B5DE
	v_accvgpr_write_b32 a176, v56                              // 000000003C08: D3D940B0 18000138
	v_accvgpr_write_b32 a184, v57                              // 000000003C10: D3D940B8 18000139
	v_accvgpr_write_b32 a177, v58                              // 000000003C18: D3D940B1 1800013A
	v_accvgpr_write_b32 a185, v59                              // 000000003C20: D3D940B9 1800013B
	v_accvgpr_write_b32 a178, v60                              // 000000003C28: D3D940B2 1800013C
	v_accvgpr_write_b32 a186, v61                              // 000000003C30: D3D940BA 1800013D
	v_accvgpr_write_b32 a179, v62                              // 000000003C38: D3D940B3 1800013E
	v_accvgpr_write_b32 a187, v63                              // 000000003C40: D3D940BB 1800013F
	v_perm_b32 v56, v230, v226, s53                            // 000000003C48: D1ED0038 00D7C5E6
	v_perm_b32 v57, v230, v226, s52                            // 000000003C50: D1ED0039 00D3C5E6
	v_perm_b32 v58, v238, v234, s53                            // 000000003C58: D1ED003A 00D7D5EE
	v_perm_b32 v59, v238, v234, s52                            // 000000003C60: D1ED003B 00D3D5EE
	v_perm_b32 v60, v246, v242, s53                            // 000000003C68: D1ED003C 00D7E5F6
	v_perm_b32 v61, v246, v242, s52                            // 000000003C70: D1ED003D 00D3E5F6
	v_perm_b32 v62, v254, v250, s53                            // 000000003C78: D1ED003E 00D7F5FE
	v_perm_b32 v63, v254, v250, s52                            // 000000003C80: D1ED003F 00D3F5FE
	v_accvgpr_write_b32 a180, v56                              // 000000003C88: D3D940B4 18000138
	v_accvgpr_write_b32 a188, v57                              // 000000003C90: D3D940BC 18000139
	v_accvgpr_write_b32 a181, v58                              // 000000003C98: D3D940B5 1800013A
	v_accvgpr_write_b32 a189, v59                              // 000000003CA0: D3D940BD 1800013B
	v_accvgpr_write_b32 a182, v60                              // 000000003CA8: D3D940B6 1800013C
	v_accvgpr_write_b32 a190, v61                              // 000000003CB0: D3D940BE 1800013D
	v_accvgpr_write_b32 a183, v62                              // 000000003CB8: D3D940B7 1800013E
	v_accvgpr_write_b32 a191, v63                              // 000000003CC0: D3D940BF 1800013F
	v_perm_b32 v56, v199, v195, s53                            // 000000003CC8: D1ED0038 00D787C7
	v_perm_b32 v57, v199, v195, s52                            // 000000003CD0: D1ED0039 00D387C7
	v_perm_b32 v58, v207, v203, s53                            // 000000003CD8: D1ED003A 00D797CF
	v_perm_b32 v59, v207, v203, s52                            // 000000003CE0: D1ED003B 00D397CF
	v_perm_b32 v60, v215, v211, s53                            // 000000003CE8: D1ED003C 00D7A7D7
	v_perm_b32 v61, v215, v211, s52                            // 000000003CF0: D1ED003D 00D3A7D7
	v_perm_b32 v62, v223, v219, s53                            // 000000003CF8: D1ED003E 00D7B7DF
	v_perm_b32 v63, v223, v219, s52                            // 000000003D00: D1ED003F 00D3B7DF
	v_accvgpr_write_b32 a192, v56                              // 000000003D08: D3D940C0 18000138
	v_accvgpr_write_b32 a200, v57                              // 000000003D10: D3D940C8 18000139
	v_accvgpr_write_b32 a193, v58                              // 000000003D18: D3D940C1 1800013A
	v_accvgpr_write_b32 a201, v59                              // 000000003D20: D3D940C9 1800013B
	v_accvgpr_write_b32 a194, v60                              // 000000003D28: D3D940C2 1800013C
	v_accvgpr_write_b32 a202, v61                              // 000000003D30: D3D940CA 1800013D
	v_accvgpr_write_b32 a195, v62                              // 000000003D38: D3D940C3 1800013E
	v_accvgpr_write_b32 a203, v63                              // 000000003D40: D3D940CB 1800013F
	v_perm_b32 v56, v231, v227, s53                            // 000000003D48: D1ED0038 00D7C7E7
	v_perm_b32 v57, v231, v227, s52                            // 000000003D50: D1ED0039 00D3C7E7
	v_perm_b32 v58, v239, v235, s53                            // 000000003D58: D1ED003A 00D7D7EF
	v_perm_b32 v59, v239, v235, s52                            // 000000003D60: D1ED003B 00D3D7EF
	v_perm_b32 v60, v247, v243, s53                            // 000000003D68: D1ED003C 00D7E7F7
	v_perm_b32 v61, v247, v243, s52                            // 000000003D70: D1ED003D 00D3E7F7
	v_perm_b32 v62, v255, v251, s53                            // 000000003D78: D1ED003E 00D7F7FF
	v_perm_b32 v63, v255, v251, s52                            // 000000003D80: D1ED003F 00D3F7FF
	v_accvgpr_write_b32 a196, v56                              // 000000003D88: D3D940C4 18000138
	v_accvgpr_write_b32 a204, v57                              // 000000003D90: D3D940CC 18000139
	v_accvgpr_write_b32 a197, v58                              // 000000003D98: D3D940C5 1800013A
	v_accvgpr_write_b32 a205, v59                              // 000000003DA0: D3D940CD 1800013B
	v_accvgpr_write_b32 a198, v60                              // 000000003DA8: D3D940C6 1800013C
	v_accvgpr_write_b32 a206, v61                              // 000000003DB0: D3D940CE 1800013D
	v_accvgpr_write_b32 a199, v62                              // 000000003DB8: D3D940C7 1800013E
	v_accvgpr_write_b32 a207, v63                              // 000000003DC0: D3D940CF 1800013F
	s_addk_i32 s70, 0x1                                        // 000000003DC8: B7460001
	s_cmp_lt_i32 s70, s71                                      // 000000003DCC: BF044746
	s_cbranch_scc0 label_0A2B                                  // 000000003DD0: BF8402F6
	s_waitcnt vmcnt(8) lgkmcnt(0)                              // 000000003DD4: BF8C0078
	s_barrier                                                  // 000000003DD8: BF8A0000
	v_mfma_f32_16x16x16_bf16 v[88:91], a[72:73], a[0:1], 0     // 000000003DDC: D3E10058 1A020148
	ds_write_b128 v20, v[128:131]                              // 000000003DE4: D9BE0000 00008014
	v_mfma_f32_16x16x16_bf16 v[88:91], a[74:75], a[2:3], v[88:91]// 000000003DEC: D3E10058 1D62054A
	buffer_load_dwordx4 v[192:195], v40, s[20:23], 0 offen     // 000000003DF4: E05C1000 8005C028
	v_mfma_f32_16x16x16_bf16 v[88:91], a[76:77], a[4:5], v[88:91]// 000000003DFC: D3E10058 1D62094C
	ds_write_b128 v20, v[132:135] offset:8224                  // 000000003E04: D9BE2020 00008414
	v_mfma_f32_16x16x16_bf16 v[88:91], a[78:79], a[6:7], v[88:91]// 000000003E0C: D3E10058 1D620D4E
	buffer_load_dword v25, v26, s[24:27], 0 offen              // 000000003E14: E0501000 8006191A
	v_mfma_f32_16x16x16_bf16 v[88:91], a[80:81], a[8:9], v[88:91]// 000000003E1C: D3E10058 1D621150
	ds_write_b128 v20, v[136:139] offset:16448                 // 000000003E24: D9BE4040 00008814
	v_mfma_f32_16x16x16_bf16 v[88:91], a[82:83], a[10:11], v[88:91]// 000000003E2C: D3E10058 1D621552
	buffer_load_dwordx4 v[196:199], v41, s[20:23], 0 offen     // 000000003E34: E05C1000 8005C429
	v_mfma_f32_16x16x16_bf16 v[88:91], a[84:85], a[12:13], v[88:91]// 000000003E3C: D3E10058 1D621954
	ds_write_b128 v20, v[140:143] offset:24672                 // 000000003E44: D9BE6060 00008C14
	v_mfma_f32_16x16x16_bf16 v[88:91], a[86:87], a[14:15], v[88:91]// 000000003E4C: D3E10058 1D621D56
	v_mfma_f32_16x16x16_bf16 v[88:91], a[88:89], a[16:17], v[88:91]// 000000003E54: D3E10058 1D622158
	ds_write_b128 v20, v[144:147] offset:1024                  // 000000003E5C: D9BE0400 00009014
	v_mfma_f32_16x16x16_bf16 v[88:91], a[90:91], a[18:19], v[88:91]// 000000003E64: D3E10058 1D62255A
	buffer_load_dwordx4 v[200:203], v42, s[20:23], 0 offen     // 000000003E6C: E05C1000 8005C82A
	v_mfma_f32_16x16x16_bf16 v[88:91], a[92:93], a[20:21], v[88:91]// 000000003E74: D3E10058 1D62295C
	ds_write_b128 v20, v[148:151] offset:9248                  // 000000003E7C: D9BE2420 00009414
	v_mfma_f32_16x16x16_bf16 v[88:91], a[94:95], a[22:23], v[88:91]// 000000003E84: D3E10058 1D622D5E
	v_mfma_f32_16x16x16_bf16 v[88:91], a[96:97], a[24:25], v[88:91]// 000000003E8C: D3E10058 1D623160
	ds_write_b128 v20, v[152:155] offset:17472                 // 000000003E94: D9BE4440 00009814
	v_mfma_f32_16x16x16_bf16 v[88:91], a[98:99], a[26:27], v[88:91]// 000000003E9C: D3E10058 1D623562
	buffer_load_dwordx4 v[204:207], v43, s[20:23], 0 offen     // 000000003EA4: E05C1000 8005CC2B
	v_mfma_f32_16x16x16_bf16 v[88:91], a[100:101], a[28:29], v[88:91]// 000000003EAC: D3E10058 1D623964
	ds_write_b128 v20, v[156:159] offset:25696                 // 000000003EB4: D9BE6460 00009C14
	v_mfma_f32_16x16x16_bf16 v[88:91], a[102:103], a[30:31], v[88:91]// 000000003EBC: D3E10058 1D623D66
	v_mfma_f32_16x16x16_bf16 v[88:91], a[104:105], a[32:33], v[88:91]// 000000003EC4: D3E10058 1D624168
	ds_write_b32 v21, v72 offset:32896                         // 000000003ECC: D81A8080 00004815
	ds_write_b32 v21, v73 offset:32960                         // 000000003ED4: D81A80C0 00004915
	v_mfma_f32_16x16x16_bf16 v[88:91], a[106:107], a[34:35], v[88:91]// 000000003EDC: D3E10058 1D62456A
	buffer_load_dwordx4 v[208:211], v44, s[20:23], 0 offen     // 000000003EE4: E05C1000 8005D02C
	v_mfma_f32_16x16x16_bf16 v[88:91], a[108:109], a[36:37], v[88:91]// 000000003EEC: D3E10058 1D62496C
	ds_write_b32 v21, v74 offset:33032                         // 000000003EF4: D81A8108 00004A15
	ds_write_b32 v21, v75 offset:33096                         // 000000003EFC: D81A8148 00004B15
	v_mfma_f32_16x16x16_bf16 v[88:91], a[110:111], a[38:39], v[88:91]// 000000003F04: D3E10058 1D624D6E
	v_mfma_f32_16x16x16_bf16 v[88:91], a[112:113], a[40:41], v[88:91]// 000000003F0C: D3E10058 1D625170
	ds_write_b32 v21, v76 offset:33168                         // 000000003F14: D81A8190 00004C15
	ds_write_b32 v21, v77 offset:33232                         // 000000003F1C: D81A81D0 00004D15
	v_mfma_f32_16x16x16_bf16 v[88:91], a[114:115], a[42:43], v[88:91]// 000000003F24: D3E10058 1D625572
	buffer_load_dwordx4 v[212:215], v45, s[20:23], 0 offen     // 000000003F2C: E05C1000 8005D42D
	v_mfma_f32_16x16x16_bf16 v[88:91], a[116:117], a[44:45], v[88:91]// 000000003F34: D3E10058 1D625974
	ds_write_b32 v21, v78 offset:33304                         // 000000003F3C: D81A8218 00004E15
	ds_write_b32 v21, v79 offset:33368                         // 000000003F44: D81A8258 00004F15
	v_mfma_f32_16x16x16_bf16 v[88:91], a[118:119], a[46:47], v[88:91]// 000000003F4C: D3E10058 1D625D76
	s_waitcnt lgkmcnt(8)                                       // 000000003F54: BF8CC87F
	s_barrier                                                  // 000000003F58: BF8A0000
	v_mfma_f32_16x16x16_bf16 v[88:91], a[120:121], a[48:49], v[88:91]// 000000003F5C: D3E10058 1D626178
	ds_read_b128 a[72:75], v22                                 // 000000003F64: DBFE0000 48000016
	v_mfma_f32_16x16x16_bf16 v[88:91], a[122:123], a[50:51], v[88:91]// 000000003F6C: D3E10058 1D62657A
	buffer_load_dwordx4 v[216:219], v46, s[20:23], 0 offen     // 000000003F74: E05C1000 8005D82E
	ds_read_b128 a[76:79], v22 offset:64                       // 000000003F7C: DBFE0040 4C000016
	v_mfma_f32_16x16x16_bf16 v[88:91], a[124:125], a[52:53], v[88:91]// 000000003F84: D3E10058 1D62697C
	ds_read_b128 a[80:83], v22 offset:128                      // 000000003F8C: DBFE0080 50000016
	v_mfma_f32_16x16x16_bf16 v[88:91], a[126:127], a[54:55], v[88:91]// 000000003F94: D3E10058 1D626D7E
	ds_read_b128 a[84:87], v22 offset:192                      // 000000003F9C: DBFE00C0 54000016
	v_mfma_f32_16x16x16_bf16 v[88:91], a[128:129], a[56:57], v[88:91]// 000000003FA4: D3E10058 1D627180
	ds_read_b128 a[88:91], v22 offset:256                      // 000000003FAC: DBFE0100 58000016
	v_mfma_f32_16x16x16_bf16 v[88:91], a[130:131], a[58:59], v[88:91]// 000000003FB4: D3E10058 1D627582
	buffer_load_dwordx4 v[220:223], v47, s[20:23], 0 offen     // 000000003FBC: E05C1000 8005DC2F
	ds_read_b128 a[92:95], v22 offset:320                      // 000000003FC4: DBFE0140 5C000016
	v_mfma_f32_16x16x16_bf16 v[88:91], a[132:133], a[60:61], v[88:91]// 000000003FCC: D3E10058 1D627984
	ds_read_b128 a[96:99], v22 offset:384                      // 000000003FD4: DBFE0180 60000016
	v_mfma_f32_16x16x16_bf16 v[88:91], a[134:135], a[62:63], v[88:91]// 000000003FDC: D3E10058 1D627D86
	ds_read_b128 a[100:103], v22 offset:448                    // 000000003FE4: DBFE01C0 64000016
	v_mfma_f32_16x16x16_bf16 v[88:91], a[136:137], a[64:65], v[88:91]// 000000003FEC: D3E10058 1D628188
	ds_read_b128 a[104:107], v22 offset:512                    // 000000003FF4: DBFE0200 68000016
	v_mfma_f32_16x16x16_bf16 v[88:91], a[138:139], a[66:67], v[88:91]// 000000003FFC: D3E10058 1D62858A
	buffer_load_dword v80, v36, s[20:23], 0 offen              // 000000004004: E0501000 80055024
	buffer_load_dword v81, v36, s[20:23], 0 offen offset:64    // 00000000400C: E0501040 80055124
	ds_read_b128 a[108:111], v22 offset:576                    // 000000004014: DBFE0240 6C000016
	v_mfma_f32_16x16x16_bf16 v[88:91], a[140:141], a[68:69], v[88:91]// 00000000401C: D3E10058 1D62898C
	ds_read_b128 a[112:115], v22 offset:640                    // 000000004024: DBFE0280 70000016
	v_mfma_f32_16x16x16_bf16 v[88:91], a[142:143], a[70:71], v[88:91]// 00000000402C: D3E10058 1D628D8E
	buffer_load_dword v82, v37, s[20:23], 0 offen              // 000000004034: E0501000 80055225
	buffer_load_dword v83, v37, s[20:23], 0 offen offset:64    // 00000000403C: E0501040 80055325
	ds_read_b128 a[116:119], v22 offset:704                    // 000000004044: DBFE02C0 74000016
	ds_read_b128 a[120:123], v22 offset:768                    // 00000000404C: DBFE0300 78000016
	ds_read_b128 a[124:127], v22 offset:832                    // 000000004054: DBFE0340 7C000016
	ds_read_b128 a[128:131], v22 offset:896                    // 00000000405C: DBFE0380 80000016
	ds_read_b128 a[132:135], v22 offset:960                    // 000000004064: DBFE03C0 84000016
	v_add_u32_e32 v26, s73, v26                                // 00000000406C: 68343449
	buffer_load_dword v84, v38, s[20:23], 0 offen              // 000000004070: E0501000 80055426
	buffer_load_dword v85, v38, s[20:23], 0 offen offset:64    // 000000004078: E0501040 80055526
	s_nop 8                                                    // 000000004080: BF800008
	v_mov_b32_e32 v8, v88                                      // 000000004084: 7E100358
	v_max3_f32 v8, v88, v89, v8                                // 000000004088: D1D30008 0422B358
	v_max3_f32 v8, v90, v91, v8                                // 000000004090: D1D30008 0422B75A
	ds_write_b32 v5, v8 offset:41600                           // 000000004098: D81AA280 00000805
	buffer_load_dword v86, v39, s[20:23], 0 offen              // 0000000040A0: E0501000 80055627
	buffer_load_dword v87, v39, s[20:23], 0 offen offset:64    // 0000000040A8: E0501040 80055727
	s_waitcnt lgkmcnt(0)                                       // 0000000040B0: BF8CC07F
	s_barrier                                                  // 0000000040B4: BF8A0000
	ds_read_b32 v56, v4 offset:41600                           // 0000000040B8: D86CA280 38000004
	buffer_load_dwordx4 v[224:227], v48, s[20:23], 0 offen     // 0000000040C0: E05C1000 8005E030
	ds_read_b32 v57, v4 offset:41664                           // 0000000040C8: D86CA2C0 39000004
	ds_read_b32 v58, v4 offset:41728                           // 0000000040D0: D86CA300 3A000004
	ds_read_b32 v59, v4 offset:41792                           // 0000000040D8: D86CA340 3B000004
	ds_read_b32 v60, v4 offset:41856                           // 0000000040E0: D86CA380 3C000004
	ds_read_b32 v61, v4 offset:41920                           // 0000000040E8: D86CA3C0 3D000004
	ds_read_b32 v62, v4 offset:41984                           // 0000000040F0: D86CA400 3E000004
	ds_read_b32 v63, v4 offset:42048                           // 0000000040F8: D86CA440 3F000004
	ds_read_b32 v64, v4 offset:42112                           // 000000004100: D86CA480 40000004
	buffer_load_dwordx4 v[228:231], v49, s[20:23], 0 offen     // 000000004108: E05C1000 8005E431
	ds_read_b32 v65, v4 offset:42176                           // 000000004110: D86CA4C0 41000004
	ds_read_b32 v66, v4 offset:42240                           // 000000004118: D86CA500 42000004
	ds_read_b32 v67, v4 offset:42304                           // 000000004120: D86CA540 43000004
	ds_read_b32 v68, v4 offset:42368                           // 000000004128: D86CA580 44000004
	ds_read_b32 v69, v4 offset:42432                           // 000000004130: D86CA5C0 45000004
	ds_read_b32 v70, v4 offset:42496                           // 000000004138: D86CA600 46000004
	ds_read_b32 v71, v4 offset:42560                           // 000000004140: D86CA640 47000004
	buffer_load_dwordx4 v[232:235], v50, s[20:23], 0 offen     // 000000004148: E05C1000 8005E832
	s_waitcnt lgkmcnt(0)                                       // 000000004150: BF8CC07F
	v_max3_f32 v8, v56, v57, v8                                // 000000004154: D1D30008 04227338
	v_max3_f32 v8, v58, v59, v8                                // 00000000415C: D1D30008 0422773A
	v_max3_f32 v8, v60, v61, v8                                // 000000004164: D1D30008 04227B3C
	v_max3_f32 v8, v62, v63, v8                                // 00000000416C: D1D30008 04227F3E
	v_max3_f32 v8, v64, v65, v8                                // 000000004174: D1D30008 04228340
	v_max3_f32 v8, v66, v67, v8                                // 00000000417C: D1D30008 04228742
	v_max3_f32 v8, v68, v69, v8                                // 000000004184: D1D30008 04228B44
	v_max3_f32 v8, v70, v71, v8                                // 00000000418C: D1D30008 04228F46
	buffer_load_dwordx4 v[236:239], v51, s[20:23], 0 offen     // 000000004194: E05C1000 8005EC33
	v_cmp_eq_u32_e64 s[32:33], v11, v12                        // 00000000419C: D0CA0020 0002190B
	v_max_f32_e32 v13, v8, v12                                 // 0000000041A4: 161A1908
	v_sub_f32_e32 v18, v12, v13                                // 0000000041A8: 04241B0C
	v_cndmask_b32_e64 v18, v18, 0, s[32:33]                    // 0000000041AC: D1000012 00810112
	v_mov_b32_e32 v12, v13                                     // 0000000041B4: 7E18030D
	v_mul_f32_e32 v9, s5, v13                                  // 0000000041B8: 0A121A05
	v_mul_f32_e32 v18, s5, v18                                 // 0000000041BC: 0A242405
	v_exp_f32_e32 v18, v18                                     // 0000000041C0: 7E244112
	buffer_load_dwordx4 v[240:243], v52, s[20:23], 0 offen     // 0000000041C4: E05C1000 8005F034
	v_fma_f32 v88, v88, s5, -v9                                // 0000000041CC: D1CB0058 84240B58
	v_fma_f32 v89, v89, s5, -v9                                // 0000000041D4: D1CB0059 84240B59
	v_fma_f32 v90, v90, s5, -v9                                // 0000000041DC: D1CB005A 84240B5A
	v_fma_f32 v91, v91, s5, -v9                                // 0000000041E4: D1CB005B 84240B5B
	v_exp_f32_e32 v88, v88                                     // 0000000041EC: 7EB04158
	v_exp_f32_e32 v89, v89                                     // 0000000041F0: 7EB24159
	v_exp_f32_e32 v90, v90                                     // 0000000041F4: 7EB4415A
	v_exp_f32_e32 v91, v91                                     // 0000000041F8: 7EB6415B
	buffer_load_dwordx4 v[244:247], v53, s[20:23], 0 offen     // 0000000041FC: E05C1000 8005F435
	v_mul_f32_e32 v14, v18, v14                                // 000000004204: 0A1C1D12
	v_mov_b32_e32 v15, v88                                     // 000000004208: 7E1E0358
	v_add_f32_e32 v15, v89, v15                                // 00000000420C: 021E1F59
	v_add_f32_e32 v15, v90, v15                                // 000000004210: 021E1F5A
	v_add_f32_e32 v15, v91, v15                                // 000000004214: 021E1F5B
	v_add_f32_e32 v14, v15, v14                                // 000000004218: 021C1D0F
	buffer_load_dwordx4 v[248:251], v54, s[20:23], 0 offen     // 00000000421C: E05C1000 8005F836
	v_cmp_u_f32_e64 s[32:33], v88, v88                         // 000000004224: D0480020 0002B158
	v_add3_u32 v28, v88, v31, 1                                // 00000000422C: D1FF001C 02063F58
	v_cndmask_b32_e64 v32, v28, v30, s[32:33]                  // 000000004234: D1000020 00823D1C
	v_cmp_u_f32_e64 s[32:33], v89, v89                         // 00000000423C: D0480020 0002B359
	v_add3_u32 v28, v89, v31, 1                                // 000000004244: D1FF001C 02063F59
	v_cndmask_b32_e64 v33, v28, v30, s[32:33]                  // 00000000424C: D1000021 00823D1C
	v_perm_b32 v88, v33, v32, s52                              // 000000004254: D1ED0058 00D24121
	v_cmp_u_f32_e64 s[32:33], v90, v90                         // 00000000425C: D0480020 0002B55A
	v_add3_u32 v28, v90, v31, 1                                // 000000004264: D1FF001C 02063F5A
	v_cndmask_b32_e64 v32, v28, v30, s[32:33]                  // 00000000426C: D1000020 00823D1C
	v_cmp_u_f32_e64 s[32:33], v91, v91                         // 000000004274: D0480020 0002B75B
	v_add3_u32 v28, v91, v31, 1                                // 00000000427C: D1FF001C 02063F5B
	v_cndmask_b32_e64 v33, v28, v30, s[32:33]                  // 000000004284: D1000021 00823D1C
	v_perm_b32 v89, v33, v32, s52                              // 00000000428C: D1ED0059 00D24121
	ds_write_b64 v7, v[88:89] offset:42624                     // 000000004294: D89AA680 00005807
	buffer_load_dwordx4 v[252:255], v55, s[20:23], 0 offen     // 00000000429C: E05C1000 8005FC37
	s_waitcnt lgkmcnt(0)                                       // 0000000042A4: BF8CC07F
	s_barrier                                                  // 0000000042A8: BF8A0000
	ds_read_b64 v[88:89], v6 offset:42624                      // 0000000042AC: D8ECA680 58000006
	ds_read_b64 v[90:91], v6 offset:42752                      // 0000000042B4: D8ECA700 5A000006
	ds_read_b64 v[92:93], v6 offset:43648                      // 0000000042BC: D8ECAA80 5C000006
	ds_read_b64 v[94:95], v6 offset:43776                      // 0000000042C4: D8ECAB00 5E000006
	v_mul_u32_u24_dpp v40, v24, v10 row_newbcast:0 row_mask:0xf bank_mask:0xf// 0000000042CC: 105014FA FF015018
	v_mul_u32_u24_dpp v41, v24, v10 row_newbcast:1 row_mask:0xf bank_mask:0xf// 0000000042D4: 105214FA FF015118
	v_mul_u32_u24_dpp v42, v24, v10 row_newbcast:2 row_mask:0xf bank_mask:0xf// 0000000042DC: 105414FA FF015218
	v_mul_u32_u24_dpp v43, v24, v10 row_newbcast:3 row_mask:0xf bank_mask:0xf// 0000000042E4: 105614FA FF015318
	v_mul_u32_u24_dpp v44, v24, v10 row_newbcast:4 row_mask:0xf bank_mask:0xf// 0000000042EC: 105814FA FF015418
	v_mul_u32_u24_dpp v45, v24, v10 row_newbcast:5 row_mask:0xf bank_mask:0xf// 0000000042F4: 105A14FA FF015518
	v_mul_u32_u24_dpp v46, v24, v10 row_newbcast:6 row_mask:0xf bank_mask:0xf// 0000000042FC: 105C14FA FF015618
	v_mul_u32_u24_dpp v47, v24, v10 row_newbcast:7 row_mask:0xf bank_mask:0xf// 000000004304: 105E14FA FF015718
	v_mul_u32_u24_dpp v48, v24, v10 row_newbcast:8 row_mask:0xf bank_mask:0xf// 00000000430C: 106014FA FF015818
	v_mul_u32_u24_dpp v49, v24, v10 row_newbcast:9 row_mask:0xf bank_mask:0xf// 000000004314: 106214FA FF015918
	v_mul_u32_u24_dpp v50, v24, v10 row_newbcast:10 row_mask:0xf bank_mask:0xf// 00000000431C: 106414FA FF015A18
	v_mul_u32_u24_dpp v51, v24, v10 row_newbcast:11 row_mask:0xf bank_mask:0xf// 000000004324: 106614FA FF015B18
	v_mul_u32_u24_dpp v52, v24, v10 row_newbcast:12 row_mask:0xf bank_mask:0xf// 00000000432C: 106814FA FF015C18
	v_mul_u32_u24_dpp v53, v24, v10 row_newbcast:13 row_mask:0xf bank_mask:0xf// 000000004334: 106A14FA FF015D18
	v_mul_u32_u24_dpp v54, v24, v10 row_newbcast:14 row_mask:0xf bank_mask:0xf// 00000000433C: 106C14FA FF015E18
	v_mul_u32_u24_dpp v55, v24, v10 row_newbcast:15 row_mask:0xf bank_mask:0xf// 000000004344: 106E14FA FF015F18
	s_mov_b32 s56, m0                                          // 00000000434C: BEB8007C
	s_set_gpr_idx_on s51, gpr_idx(SRC0)                        // 000000004350: BF110133
	v_add_u32_e32 v36, v40, v3                                 // 000000004354: 68480728
	v_add_u32_e32 v37, v41, v3                                 // 000000004358: 684A0729
	v_add_u32_e32 v38, v42, v3                                 // 00000000435C: 684C072A
	v_add_u32_e32 v39, v43, v3                                 // 000000004360: 684E072B
	s_set_gpr_idx_off                                          // 000000004364: BF9C0000
	s_mov_b32 m0, s56                                          // 000000004368: BEFC0038
	v_add_u32_e32 v40, v40, v2                                 // 00000000436C: 68500528
	v_add_u32_e32 v41, v41, v2                                 // 000000004370: 68520529
	v_add_u32_e32 v42, v42, v2                                 // 000000004374: 6854052A
	v_add_u32_e32 v43, v43, v2                                 // 000000004378: 6856052B
	v_add_u32_e32 v44, v44, v2                                 // 00000000437C: 6858052C
	v_add_u32_e32 v45, v45, v2                                 // 000000004380: 685A052D
	v_add_u32_e32 v46, v46, v2                                 // 000000004384: 685C052E
	v_add_u32_e32 v47, v47, v2                                 // 000000004388: 685E052F
	v_add_u32_e32 v48, v48, v2                                 // 00000000438C: 68600530
	v_add_u32_e32 v49, v49, v2                                 // 000000004390: 68620531
	v_add_u32_e32 v50, v50, v2                                 // 000000004394: 68640532
	;; [unrolled: 1-line block ×3, first 2 shown]
	v_add_u32_e32 v52, v52, v2                                 // 00000000439C: 68680534
	v_add_u32_e32 v53, v53, v2                                 // 0000000043A0: 686A0535
	v_add_u32_e32 v54, v54, v2                                 // 0000000043A4: 686C0536
	v_add_u32_e32 v55, v55, v2                                 // 0000000043A8: 686E0537
	s_waitcnt lgkmcnt(0)                                       // 0000000043AC: BF8CC07F
	v_mul_f32_e32 v96, v18, v96                                // 0000000043B0: 0AC0C112
	v_mul_f32_e32 v97, v18, v97                                // 0000000043B4: 0AC2C312
	v_mul_f32_e32 v98, v18, v98                                // 0000000043B8: 0AC4C512
	v_mul_f32_e32 v99, v18, v99                                // 0000000043BC: 0AC6C712
	v_mul_f32_e32 v100, v18, v100                              // 0000000043C0: 0AC8C912
	v_mul_f32_e32 v101, v18, v101                              // 0000000043C4: 0ACACB12
	v_mul_f32_e32 v102, v18, v102                              // 0000000043C8: 0ACCCD12
	v_mul_f32_e32 v103, v18, v103                              // 0000000043CC: 0ACECF12
	v_mul_f32_e32 v104, v18, v104                              // 0000000043D0: 0AD0D112
	v_mul_f32_e32 v105, v18, v105                              // 0000000043D4: 0AD2D312
	v_mul_f32_e32 v106, v18, v106                              // 0000000043D8: 0AD4D512
	v_mul_f32_e32 v107, v18, v107                              // 0000000043DC: 0AD6D712
	v_mul_f32_e32 v108, v18, v108                              // 0000000043E0: 0AD8D912
	v_mul_f32_e32 v109, v18, v109                              // 0000000043E4: 0ADADB12
	v_mul_f32_e32 v110, v18, v110                              // 0000000043E8: 0ADCDD12
	v_mul_f32_e32 v111, v18, v111                              // 0000000043EC: 0ADEDF12
	v_mul_f32_e32 v112, v18, v112                              // 0000000043F0: 0AE0E112
	v_mul_f32_e32 v113, v18, v113                              // 0000000043F4: 0AE2E312
	v_mul_f32_e32 v114, v18, v114                              // 0000000043F8: 0AE4E512
	v_mul_f32_e32 v115, v18, v115                              // 0000000043FC: 0AE6E712
	v_mul_f32_e32 v116, v18, v116                              // 000000004400: 0AE8E912
	v_mul_f32_e32 v117, v18, v117                              // 000000004404: 0AEAEB12
	v_mul_f32_e32 v118, v18, v118                              // 000000004408: 0AECED12
	v_mul_f32_e32 v119, v18, v119                              // 00000000440C: 0AEEEF12
	v_mul_f32_e32 v120, v18, v120                              // 000000004410: 0AF0F112
	v_mul_f32_e32 v121, v18, v121                              // 000000004414: 0AF2F312
	v_mul_f32_e32 v122, v18, v122                              // 000000004418: 0AF4F512
	v_mul_f32_e32 v123, v18, v123                              // 00000000441C: 0AF6F712
	v_mul_f32_e32 v124, v18, v124                              // 000000004420: 0AF8F912
	v_mul_f32_e32 v125, v18, v125                              // 000000004424: 0AFAFB12
	v_mul_f32_e32 v126, v18, v126                              // 000000004428: 0AFCFD12
	v_mul_f32_e32 v127, v18, v127                              // 00000000442C: 0AFEFF12
	s_waitcnt vmcnt(25)                                        // 000000004430: BF8C4F79
	v_mfma_f32_16x16x16_bf16 v[96:99], a[144:145], v[88:89], v[96:99]// 000000004434: D3E10060 0D82B190
	v_mfma_f32_16x16x16_bf16 v[96:99], a[146:147], v[90:91], v[96:99]// 00000000443C: D3E10060 0D82B592
	ds_write_b128 v20, v[160:163]                              // 000000004444: D9BE0000 0000A014
	v_mfma_f32_16x16x16_bf16 v[96:99], a[148:149], v[92:93], v[96:99]// 00000000444C: D3E10060 0D82B994
	v_mfma_f32_16x16x16_bf16 v[96:99], a[150:151], v[94:95], v[96:99]// 000000004454: D3E10060 0D82BD96
	ds_write_b128 v20, v[164:167] offset:8224                  // 00000000445C: D9BE2020 0000A414
	v_mfma_f32_16x16x16_bf16 v[100:103], a[152:153], v[88:89], v[100:103]// 000000004464: D3E10064 0D92B198
	v_mfma_f32_16x16x16_bf16 v[100:103], a[154:155], v[90:91], v[100:103]// 00000000446C: D3E10064 0D92B59A
	ds_write_b128 v20, v[168:171] offset:16448                 // 000000004474: D9BE4040 0000A814
	v_mfma_f32_16x16x16_bf16 v[100:103], a[156:157], v[92:93], v[100:103]// 00000000447C: D3E10064 0D92B99C
	v_mfma_f32_16x16x16_bf16 v[100:103], a[158:159], v[94:95], v[100:103]// 000000004484: D3E10064 0D92BD9E
	ds_write_b128 v20, v[172:175] offset:24672                 // 00000000448C: D9BE6060 0000AC14
	v_mfma_f32_16x16x16_bf16 v[104:107], a[160:161], v[88:89], v[104:107]// 000000004494: D3E10068 0DA2B1A0
	v_mfma_f32_16x16x16_bf16 v[104:107], a[162:163], v[90:91], v[104:107]// 00000000449C: D3E10068 0DA2B5A2
	ds_write_b128 v20, v[176:179] offset:1024                  // 0000000044A4: D9BE0400 0000B014
	v_mfma_f32_16x16x16_bf16 v[104:107], a[164:165], v[92:93], v[104:107]// 0000000044AC: D3E10068 0DA2B9A4
	v_mfma_f32_16x16x16_bf16 v[104:107], a[166:167], v[94:95], v[104:107]// 0000000044B4: D3E10068 0DA2BDA6
	ds_write_b128 v20, v[180:183] offset:9248                  // 0000000044BC: D9BE2420 0000B414
	v_mfma_f32_16x16x16_bf16 v[108:111], a[168:169], v[88:89], v[108:111]// 0000000044C4: D3E1006C 0DB2B1A8
	v_mfma_f32_16x16x16_bf16 v[108:111], a[170:171], v[90:91], v[108:111]// 0000000044CC: D3E1006C 0DB2B5AA
	ds_write_b128 v20, v[184:187] offset:17472                 // 0000000044D4: D9BE4440 0000B814
	v_mfma_f32_16x16x16_bf16 v[108:111], a[172:173], v[92:93], v[108:111]// 0000000044DC: D3E1006C 0DB2B9AC
	v_mfma_f32_16x16x16_bf16 v[108:111], a[174:175], v[94:95], v[108:111]// 0000000044E4: D3E1006C 0DB2BDAE
	ds_write_b128 v20, v[188:191] offset:25696                 // 0000000044EC: D9BE6460 0000BC14
	v_mfma_f32_16x16x16_bf16 v[112:115], a[176:177], v[88:89], v[112:115]// 0000000044F4: D3E10070 0DC2B1B0
	v_mfma_f32_16x16x16_bf16 v[112:115], a[178:179], v[90:91], v[112:115]// 0000000044FC: D3E10070 0DC2B5B2
	ds_read_b64 a[136:137], v23 offset:32896                   // 000000004504: DAEC8080 88000017
	ds_read_b64 a[138:139], v23 offset:32904                   // 00000000450C: DAEC8088 8A000017
	v_mfma_f32_16x16x16_bf16 v[112:115], a[180:181], v[92:93], v[112:115]// 000000004514: D3E10070 0DC2B9B4
	v_mfma_f32_16x16x16_bf16 v[112:115], a[182:183], v[94:95], v[112:115]// 00000000451C: D3E10070 0DC2BDB6
	ds_read_b64 a[140:141], v23 offset:32960                   // 000000004524: DAEC80C0 8C000017
	ds_read_b64 a[142:143], v23 offset:32968                   // 00000000452C: DAEC80C8 8E000017
	s_waitcnt lgkmcnt(8)                                       // 000000004534: BF8CC87F
	s_barrier                                                  // 000000004538: BF8A0000
	v_mfma_f32_16x16x16_bf16 v[116:119], a[184:185], v[88:89], v[116:119]// 00000000453C: D3E10074 0DD2B1B8
	v_mfma_f32_16x16x16_bf16 v[116:119], a[186:187], v[90:91], v[116:119]// 000000004544: D3E10074 0DD2B5BA
	v_mfma_f32_16x16x16_bf16 v[116:119], a[188:189], v[92:93], v[116:119]// 00000000454C: D3E10074 0DD2B9BC
	v_mfma_f32_16x16x16_bf16 v[116:119], a[190:191], v[94:95], v[116:119]// 000000004554: D3E10074 0DD2BDBE
	v_mfma_f32_16x16x16_bf16 v[120:123], a[192:193], v[88:89], v[120:123]// 00000000455C: D3E10078 0DE2B1C0
	v_mfma_f32_16x16x16_bf16 v[120:123], a[194:195], v[90:91], v[120:123]// 000000004564: D3E10078 0DE2B5C2
	v_mfma_f32_16x16x16_bf16 v[120:123], a[196:197], v[92:93], v[120:123]// 00000000456C: D3E10078 0DE2B9C4
	v_mfma_f32_16x16x16_bf16 v[120:123], a[198:199], v[94:95], v[120:123]// 000000004574: D3E10078 0DE2BDC6
	v_mfma_f32_16x16x16_bf16 v[124:127], a[200:201], v[88:89], v[124:127]// 00000000457C: D3E1007C 0DF2B1C8
	v_mfma_f32_16x16x16_bf16 v[124:127], a[202:203], v[90:91], v[124:127]// 000000004584: D3E1007C 0DF2B5CA
	v_mfma_f32_16x16x16_bf16 v[124:127], a[204:205], v[92:93], v[124:127]// 00000000458C: D3E1007C 0DF2B9CC
	v_mfma_f32_16x16x16_bf16 v[124:127], a[206:207], v[94:95], v[124:127]// 000000004594: D3E1007C 0DF2BDCE
	v_perm_b32 v56, v132, v128, s53                            // 00000000459C: D1ED0038 00D70184
	v_perm_b32 v57, v132, v128, s52                            // 0000000045A4: D1ED0039 00D30184
	v_perm_b32 v58, v140, v136, s53                            // 0000000045AC: D1ED003A 00D7118C
	v_perm_b32 v59, v140, v136, s52                            // 0000000045B4: D1ED003B 00D3118C
	v_perm_b32 v60, v148, v144, s53                            // 0000000045BC: D1ED003C 00D72194
	v_perm_b32 v61, v148, v144, s52                            // 0000000045C4: D1ED003D 00D32194
	v_perm_b32 v62, v156, v152, s53                            // 0000000045CC: D1ED003E 00D7319C
	v_perm_b32 v63, v156, v152, s52                            // 0000000045D4: D1ED003F 00D3319C
	v_accvgpr_write_b32 a144, v56                              // 0000000045DC: D3D94090 18000138
	v_accvgpr_write_b32 a152, v57                              // 0000000045E4: D3D94098 18000139
	v_accvgpr_write_b32 a145, v58                              // 0000000045EC: D3D94091 1800013A
	v_accvgpr_write_b32 a153, v59                              // 0000000045F4: D3D94099 1800013B
	v_accvgpr_write_b32 a146, v60                              // 0000000045FC: D3D94092 1800013C
	v_accvgpr_write_b32 a154, v61                              // 000000004604: D3D9409A 1800013D
	v_accvgpr_write_b32 a147, v62                              // 00000000460C: D3D94093 1800013E
	v_accvgpr_write_b32 a155, v63                              // 000000004614: D3D9409B 1800013F
	v_perm_b32 v56, v164, v160, s53                            // 00000000461C: D1ED0038 00D741A4
	v_perm_b32 v57, v164, v160, s52                            // 000000004624: D1ED0039 00D341A4
	v_perm_b32 v58, v172, v168, s53                            // 00000000462C: D1ED003A 00D751AC
	v_perm_b32 v59, v172, v168, s52                            // 000000004634: D1ED003B 00D351AC
	v_perm_b32 v60, v180, v176, s53                            // 00000000463C: D1ED003C 00D761B4
	v_perm_b32 v61, v180, v176, s52                            // 000000004644: D1ED003D 00D361B4
	v_perm_b32 v62, v188, v184, s53                            // 00000000464C: D1ED003E 00D771BC
	v_perm_b32 v63, v188, v184, s52                            // 000000004654: D1ED003F 00D371BC
	v_accvgpr_write_b32 a148, v56                              // 00000000465C: D3D94094 18000138
	v_accvgpr_write_b32 a156, v57                              // 000000004664: D3D9409C 18000139
	v_accvgpr_write_b32 a149, v58                              // 00000000466C: D3D94095 1800013A
	v_accvgpr_write_b32 a157, v59                              // 000000004674: D3D9409D 1800013B
	v_accvgpr_write_b32 a150, v60                              // 00000000467C: D3D94096 1800013C
	v_accvgpr_write_b32 a158, v61                              // 000000004684: D3D9409E 1800013D
	v_accvgpr_write_b32 a151, v62                              // 00000000468C: D3D94097 1800013E
	v_accvgpr_write_b32 a159, v63                              // 000000004694: D3D9409F 1800013F
	v_perm_b32 v56, v133, v129, s53                            // 00000000469C: D1ED0038 00D70385
	v_perm_b32 v57, v133, v129, s52                            // 0000000046A4: D1ED0039 00D30385
	v_perm_b32 v58, v141, v137, s53                            // 0000000046AC: D1ED003A 00D7138D
	v_perm_b32 v59, v141, v137, s52                            // 0000000046B4: D1ED003B 00D3138D
	v_perm_b32 v60, v149, v145, s53                            // 0000000046BC: D1ED003C 00D72395
	v_perm_b32 v61, v149, v145, s52                            // 0000000046C4: D1ED003D 00D32395
	v_perm_b32 v62, v157, v153, s53                            // 0000000046CC: D1ED003E 00D7339D
	v_perm_b32 v63, v157, v153, s52                            // 0000000046D4: D1ED003F 00D3339D
	v_accvgpr_write_b32 a160, v56                              // 0000000046DC: D3D940A0 18000138
	v_accvgpr_write_b32 a168, v57                              // 0000000046E4: D3D940A8 18000139
	v_accvgpr_write_b32 a161, v58                              // 0000000046EC: D3D940A1 1800013A
	v_accvgpr_write_b32 a169, v59                              // 0000000046F4: D3D940A9 1800013B
	v_accvgpr_write_b32 a162, v60                              // 0000000046FC: D3D940A2 1800013C
	v_accvgpr_write_b32 a170, v61                              // 000000004704: D3D940AA 1800013D
	v_accvgpr_write_b32 a163, v62                              // 00000000470C: D3D940A3 1800013E
	v_accvgpr_write_b32 a171, v63                              // 000000004714: D3D940AB 1800013F
	v_perm_b32 v56, v165, v161, s53                            // 00000000471C: D1ED0038 00D743A5
	v_perm_b32 v57, v165, v161, s52                            // 000000004724: D1ED0039 00D343A5
	v_perm_b32 v58, v173, v169, s53                            // 00000000472C: D1ED003A 00D753AD
	v_perm_b32 v59, v173, v169, s52                            // 000000004734: D1ED003B 00D353AD
	v_perm_b32 v60, v181, v177, s53                            // 00000000473C: D1ED003C 00D763B5
	v_perm_b32 v61, v181, v177, s52                            // 000000004744: D1ED003D 00D363B5
	v_perm_b32 v62, v189, v185, s53                            // 00000000474C: D1ED003E 00D773BD
	v_perm_b32 v63, v189, v185, s52                            // 000000004754: D1ED003F 00D373BD
	v_accvgpr_write_b32 a164, v56                              // 00000000475C: D3D940A4 18000138
	v_accvgpr_write_b32 a172, v57                              // 000000004764: D3D940AC 18000139
	v_accvgpr_write_b32 a165, v58                              // 00000000476C: D3D940A5 1800013A
	v_accvgpr_write_b32 a173, v59                              // 000000004774: D3D940AD 1800013B
	v_accvgpr_write_b32 a166, v60                              // 00000000477C: D3D940A6 1800013C
	v_accvgpr_write_b32 a174, v61                              // 000000004784: D3D940AE 1800013D
	v_accvgpr_write_b32 a167, v62                              // 00000000478C: D3D940A7 1800013E
	v_accvgpr_write_b32 a175, v63                              // 000000004794: D3D940AF 1800013F
	v_perm_b32 v56, v134, v130, s53                            // 00000000479C: D1ED0038 00D70586
	v_perm_b32 v57, v134, v130, s52                            // 0000000047A4: D1ED0039 00D30586
	v_perm_b32 v58, v142, v138, s53                            // 0000000047AC: D1ED003A 00D7158E
	v_perm_b32 v59, v142, v138, s52                            // 0000000047B4: D1ED003B 00D3158E
	v_perm_b32 v60, v150, v146, s53                            // 0000000047BC: D1ED003C 00D72596
	v_perm_b32 v61, v150, v146, s52                            // 0000000047C4: D1ED003D 00D32596
	v_perm_b32 v62, v158, v154, s53                            // 0000000047CC: D1ED003E 00D7359E
	v_perm_b32 v63, v158, v154, s52                            // 0000000047D4: D1ED003F 00D3359E
	v_accvgpr_write_b32 a176, v56                              // 0000000047DC: D3D940B0 18000138
	v_accvgpr_write_b32 a184, v57                              // 0000000047E4: D3D940B8 18000139
	v_accvgpr_write_b32 a177, v58                              // 0000000047EC: D3D940B1 1800013A
	v_accvgpr_write_b32 a185, v59                              // 0000000047F4: D3D940B9 1800013B
	v_accvgpr_write_b32 a178, v60                              // 0000000047FC: D3D940B2 1800013C
	v_accvgpr_write_b32 a186, v61                              // 000000004804: D3D940BA 1800013D
	v_accvgpr_write_b32 a179, v62                              // 00000000480C: D3D940B3 1800013E
	v_accvgpr_write_b32 a187, v63                              // 000000004814: D3D940BB 1800013F
	v_perm_b32 v56, v166, v162, s53                            // 00000000481C: D1ED0038 00D745A6
	v_perm_b32 v57, v166, v162, s52                            // 000000004824: D1ED0039 00D345A6
	v_perm_b32 v58, v174, v170, s53                            // 00000000482C: D1ED003A 00D755AE
	v_perm_b32 v59, v174, v170, s52                            // 000000004834: D1ED003B 00D355AE
	v_perm_b32 v60, v182, v178, s53                            // 00000000483C: D1ED003C 00D765B6
	v_perm_b32 v61, v182, v178, s52                            // 000000004844: D1ED003D 00D365B6
	v_perm_b32 v62, v190, v186, s53                            // 00000000484C: D1ED003E 00D775BE
	v_perm_b32 v63, v190, v186, s52                            // 000000004854: D1ED003F 00D375BE
	v_accvgpr_write_b32 a180, v56                              // 00000000485C: D3D940B4 18000138
	v_accvgpr_write_b32 a188, v57                              // 000000004864: D3D940BC 18000139
	v_accvgpr_write_b32 a181, v58                              // 00000000486C: D3D940B5 1800013A
	v_accvgpr_write_b32 a189, v59                              // 000000004874: D3D940BD 1800013B
	v_accvgpr_write_b32 a182, v60                              // 00000000487C: D3D940B6 1800013C
	v_accvgpr_write_b32 a190, v61                              // 000000004884: D3D940BE 1800013D
	v_accvgpr_write_b32 a183, v62                              // 00000000488C: D3D940B7 1800013E
	v_accvgpr_write_b32 a191, v63                              // 000000004894: D3D940BF 1800013F
	v_perm_b32 v56, v135, v131, s53                            // 00000000489C: D1ED0038 00D70787
	v_perm_b32 v57, v135, v131, s52                            // 0000000048A4: D1ED0039 00D30787
	v_perm_b32 v58, v143, v139, s53                            // 0000000048AC: D1ED003A 00D7178F
	v_perm_b32 v59, v143, v139, s52                            // 0000000048B4: D1ED003B 00D3178F
	v_perm_b32 v60, v151, v147, s53                            // 0000000048BC: D1ED003C 00D72797
	v_perm_b32 v61, v151, v147, s52                            // 0000000048C4: D1ED003D 00D32797
	v_perm_b32 v62, v159, v155, s53                            // 0000000048CC: D1ED003E 00D7379F
	v_perm_b32 v63, v159, v155, s52                            // 0000000048D4: D1ED003F 00D3379F
	v_accvgpr_write_b32 a192, v56                              // 0000000048DC: D3D940C0 18000138
	v_accvgpr_write_b32 a200, v57                              // 0000000048E4: D3D940C8 18000139
	v_accvgpr_write_b32 a193, v58                              // 0000000048EC: D3D940C1 1800013A
	v_accvgpr_write_b32 a201, v59                              // 0000000048F4: D3D940C9 1800013B
	v_accvgpr_write_b32 a194, v60                              // 0000000048FC: D3D940C2 1800013C
	v_accvgpr_write_b32 a202, v61                              // 000000004904: D3D940CA 1800013D
	v_accvgpr_write_b32 a195, v62                              // 00000000490C: D3D940C3 1800013E
	v_accvgpr_write_b32 a203, v63                              // 000000004914: D3D940CB 1800013F
	v_perm_b32 v56, v167, v163, s53                            // 00000000491C: D1ED0038 00D747A7
	v_perm_b32 v57, v167, v163, s52                            // 000000004924: D1ED0039 00D347A7
	v_perm_b32 v58, v175, v171, s53                            // 00000000492C: D1ED003A 00D757AF
	v_perm_b32 v59, v175, v171, s52                            // 000000004934: D1ED003B 00D357AF
	v_perm_b32 v60, v183, v179, s53                            // 00000000493C: D1ED003C 00D767B7
	v_perm_b32 v61, v183, v179, s52                            // 000000004944: D1ED003D 00D367B7
	v_perm_b32 v62, v191, v187, s53                            // 00000000494C: D1ED003E 00D777BF
	v_perm_b32 v63, v191, v187, s52                            // 000000004954: D1ED003F 00D377BF
	v_accvgpr_write_b32 a196, v56                              // 00000000495C: D3D940C4 18000138
	v_accvgpr_write_b32 a204, v57                              // 000000004964: D3D940CC 18000139
	v_accvgpr_write_b32 a197, v58                              // 00000000496C: D3D940C5 1800013A
	v_accvgpr_write_b32 a205, v59                              // 000000004974: D3D940CD 1800013B
	v_accvgpr_write_b32 a198, v60                              // 00000000497C: D3D940C6 1800013C
	v_accvgpr_write_b32 a206, v61                              // 000000004984: D3D940CE 1800013D
	v_accvgpr_write_b32 a199, v62                              // 00000000498C: D3D940C7 1800013E
	v_accvgpr_write_b32 a207, v63                              // 000000004994: D3D940CF 1800013F
	s_addk_i32 s70, 0x1                                        // 00000000499C: B7460001
	s_cmp_lt_i32 s70, s71                                      // 0000000049A0: BF044746
	s_cbranch_scc0 label_0A2B                                  // 0000000049A4: BF840001
	s_branch label_0440                                        // 0000000049A8: BF82FA15

00000000000049ac <label_0A2B>:
	s_nop 0                                                    // 0000000049AC: BF800000
	s_nop 0                                                    // 0000000049B0: BF800000
	s_branch label_1019                                        // 0000000049B4: BF8205EB

00000000000049b8 <label_0A2E>:
	s_waitcnt vmcnt(8) lgkmcnt(0)                              // 0000000049B8: BF8C0078
	s_barrier                                                  // 0000000049BC: BF8A0000
	v_mfma_f32_16x16x16_bf16 v[88:91], a[72:73], a[0:1], 0     // 0000000049C0: D3E10058 1A020148
	buffer_load_dwordx4 v[128:131], v40, s[20:23], 0 offen     // 0000000049C8: E05C1000 80058028
	v_mfma_f32_16x16x16_bf16 v[88:91], a[74:75], a[2:3], v[88:91]// 0000000049D0: D3E10058 1D62054A
	ds_write_b128 v20, v[192:195]                              // 0000000049D8: D9BE0000 0000C014
	v_mfma_f32_16x16x16_bf16 v[88:91], a[76:77], a[4:5], v[88:91]// 0000000049E0: D3E10058 1D62094C
	buffer_load_dword v24, v26, s[24:27], 0 offen              // 0000000049E8: E0501000 8006181A
	v_mfma_f32_16x16x16_bf16 v[88:91], a[78:79], a[6:7], v[88:91]// 0000000049F0: D3E10058 1D620D4E
	ds_write_b128 v20, v[196:199] offset:8224                  // 0000000049F8: D9BE2020 0000C414
	v_mfma_f32_16x16x16_bf16 v[88:91], a[80:81], a[8:9], v[88:91]// 000000004A00: D3E10058 1D621150
	buffer_load_dwordx4 v[132:135], v41, s[20:23], 0 offen     // 000000004A08: E05C1000 80058429
	v_mfma_f32_16x16x16_bf16 v[88:91], a[82:83], a[10:11], v[88:91]// 000000004A10: D3E10058 1D621552
	ds_write_b128 v20, v[200:203] offset:16448                 // 000000004A18: D9BE4040 0000C814
	v_mfma_f32_16x16x16_bf16 v[88:91], a[84:85], a[12:13], v[88:91]// 000000004A20: D3E10058 1D621954
	v_mfma_f32_16x16x16_bf16 v[88:91], a[86:87], a[14:15], v[88:91]// 000000004A28: D3E10058 1D621D56
	ds_write_b128 v20, v[204:207] offset:24672                 // 000000004A30: D9BE6060 0000CC14
	v_mfma_f32_16x16x16_bf16 v[88:91], a[88:89], a[16:17], v[88:91]// 000000004A38: D3E10058 1D622158
	buffer_load_dwordx4 v[136:139], v42, s[20:23], 0 offen     // 000000004A40: E05C1000 8005882A
	v_mfma_f32_16x16x16_bf16 v[88:91], a[90:91], a[18:19], v[88:91]// 000000004A48: D3E10058 1D62255A
	ds_write_b128 v20, v[208:211] offset:1024                  // 000000004A50: D9BE0400 0000D014
	v_mfma_f32_16x16x16_bf16 v[88:91], a[92:93], a[20:21], v[88:91]// 000000004A58: D3E10058 1D62295C
	v_mfma_f32_16x16x16_bf16 v[88:91], a[94:95], a[22:23], v[88:91]// 000000004A60: D3E10058 1D622D5E
	ds_write_b128 v20, v[212:215] offset:9248                  // 000000004A68: D9BE2420 0000D414
	v_mfma_f32_16x16x16_bf16 v[88:91], a[96:97], a[24:25], v[88:91]// 000000004A70: D3E10058 1D623160
	buffer_load_dwordx4 v[140:143], v43, s[20:23], 0 offen     // 000000004A78: E05C1000 80058C2B
	v_mfma_f32_16x16x16_bf16 v[88:91], a[98:99], a[26:27], v[88:91]// 000000004A80: D3E10058 1D623562
	ds_write_b128 v20, v[216:219] offset:17472                 // 000000004A88: D9BE4440 0000D814
	v_mfma_f32_16x16x16_bf16 v[88:91], a[100:101], a[28:29], v[88:91]// 000000004A90: D3E10058 1D623964
	v_mfma_f32_16x16x16_bf16 v[88:91], a[102:103], a[30:31], v[88:91]// 000000004A98: D3E10058 1D623D66
	ds_write_b128 v20, v[220:223] offset:25696                 // 000000004AA0: D9BE6460 0000DC14
	v_mfma_f32_16x16x16_bf16 v[88:91], a[104:105], a[32:33], v[88:91]// 000000004AA8: D3E10058 1D624168
	buffer_load_dwordx4 v[144:147], v44, s[20:23], 0 offen     // 000000004AB0: E05C1000 8005902C
	v_mfma_f32_16x16x16_bf16 v[88:91], a[106:107], a[34:35], v[88:91]// 000000004AB8: D3E10058 1D62456A
	ds_write_b32 v21, v80 offset:32896                         // 000000004AC0: D81A8080 00005015
	ds_write_b32 v21, v81 offset:32960                         // 000000004AC8: D81A80C0 00005115
	v_mfma_f32_16x16x16_bf16 v[88:91], a[108:109], a[36:37], v[88:91]// 000000004AD0: D3E10058 1D62496C
	v_mfma_f32_16x16x16_bf16 v[88:91], a[110:111], a[38:39], v[88:91]// 000000004AD8: D3E10058 1D624D6E
	ds_write_b32 v21, v82 offset:33032                         // 000000004AE0: D81A8108 00005215
	ds_write_b32 v21, v83 offset:33096                         // 000000004AE8: D81A8148 00005315
	v_mfma_f32_16x16x16_bf16 v[88:91], a[112:113], a[40:41], v[88:91]// 000000004AF0: D3E10058 1D625170
	buffer_load_dwordx4 v[148:151], v45, s[20:23], 0 offen     // 000000004AF8: E05C1000 8005942D
	v_mfma_f32_16x16x16_bf16 v[88:91], a[114:115], a[42:43], v[88:91]// 000000004B00: D3E10058 1D625572
	ds_write_b32 v21, v84 offset:33168                         // 000000004B08: D81A8190 00005415
	ds_write_b32 v21, v85 offset:33232                         // 000000004B10: D81A81D0 00005515
	v_mfma_f32_16x16x16_bf16 v[88:91], a[116:117], a[44:45], v[88:91]// 000000004B18: D3E10058 1D625974
	v_mfma_f32_16x16x16_bf16 v[88:91], a[118:119], a[46:47], v[88:91]// 000000004B20: D3E10058 1D625D76
	ds_write_b32 v21, v86 offset:33304                         // 000000004B28: D81A8218 00005615
	ds_write_b32 v21, v87 offset:33368                         // 000000004B30: D81A8258 00005715
	s_waitcnt lgkmcnt(8)                                       // 000000004B38: BF8CC87F
	s_barrier                                                  // 000000004B3C: BF8A0000
	v_mfma_f32_16x16x16_bf16 v[88:91], a[120:121], a[48:49], v[88:91]// 000000004B40: D3E10058 1D626178
	buffer_load_dwordx4 v[152:155], v46, s[20:23], 0 offen     // 000000004B48: E05C1000 8005982E
	v_mfma_f32_16x16x16_bf16 v[88:91], a[122:123], a[50:51], v[88:91]// 000000004B50: D3E10058 1D62657A
	v_mfma_f32_16x16x16_bf16 v[88:91], a[124:125], a[52:53], v[88:91]// 000000004B58: D3E10058 1D62697C
	v_mfma_f32_16x16x16_bf16 v[88:91], a[126:127], a[54:55], v[88:91]// 000000004B60: D3E10058 1D626D7E
	v_mfma_f32_16x16x16_bf16 v[88:91], a[128:129], a[56:57], v[88:91]// 000000004B68: D3E10058 1D627180
	buffer_load_dwordx4 v[156:159], v47, s[20:23], 0 offen     // 000000004B70: E05C1000 80059C2F
	v_mfma_f32_16x16x16_bf16 v[88:91], a[130:131], a[58:59], v[88:91]// 000000004B78: D3E10058 1D627582
	v_mfma_f32_16x16x16_bf16 v[88:91], a[132:133], a[60:61], v[88:91]// 000000004B80: D3E10058 1D627984
	v_mfma_f32_16x16x16_bf16 v[88:91], a[134:135], a[62:63], v[88:91]// 000000004B88: D3E10058 1D627D86
	v_mfma_f32_16x16x16_bf16 v[88:91], a[136:137], a[64:65], v[88:91]// 000000004B90: D3E10058 1D628188
	buffer_load_dword v72, v36, s[20:23], 0 offen              // 000000004B98: E0501000 80054824
	buffer_load_dword v73, v36, s[20:23], 0 offen offset:64    // 000000004BA0: E0501040 80054924
	v_mfma_f32_16x16x16_bf16 v[88:91], a[138:139], a[66:67], v[88:91]// 000000004BA8: D3E10058 1D62858A
	v_mfma_f32_16x16x16_bf16 v[88:91], a[140:141], a[68:69], v[88:91]// 000000004BB0: D3E10058 1D62898C
	buffer_load_dword v74, v37, s[20:23], 0 offen              // 000000004BB8: E0501000 80054A25
	buffer_load_dword v75, v37, s[20:23], 0 offen offset:64    // 000000004BC0: E0501040 80054B25
	v_mfma_f32_16x16x16_bf16 v[88:91], a[142:143], a[70:71], v[88:91]// 000000004BC8: D3E10058 1D628D8E
	v_add_u32_e32 v26, s73, v26                                // 000000004BD0: 68343449
	buffer_load_dword v76, v38, s[20:23], 0 offen              // 000000004BD4: E0501000 80054C26
	buffer_load_dword v77, v38, s[20:23], 0 offen offset:64    // 000000004BDC: E0501040 80054D26
	s_nop 8                                                    // 000000004BE4: BF800008
	v_mov_b32_e32 v8, v88                                      // 000000004BE8: 7E100358
	v_max3_f32 v8, v88, v89, v8                                // 000000004BEC: D1D30008 0422B358
	v_max3_f32 v8, v90, v91, v8                                // 000000004BF4: D1D30008 0422B75A
	ds_write_b32 v5, v8 offset:41600                           // 000000004BFC: D81AA280 00000805
	buffer_load_dword v78, v39, s[20:23], 0 offen              // 000000004C04: E0501000 80054E27
	buffer_load_dword v79, v39, s[20:23], 0 offen offset:64    // 000000004C0C: E0501040 80054F27
	s_waitcnt lgkmcnt(0)                                       // 000000004C14: BF8CC07F
	s_barrier                                                  // 000000004C18: BF8A0000
	ds_read_b32 v56, v4 offset:41600                           // 000000004C1C: D86CA280 38000004
	buffer_load_dwordx4 v[160:163], v48, s[20:23], 0 offen     // 000000004C24: E05C1000 8005A030
	ds_read_b32 v57, v4 offset:41664                           // 000000004C2C: D86CA2C0 39000004
	ds_read_b32 v58, v4 offset:41728                           // 000000004C34: D86CA300 3A000004
	ds_read_b32 v59, v4 offset:41792                           // 000000004C3C: D86CA340 3B000004
	ds_read_b32 v60, v4 offset:41856                           // 000000004C44: D86CA380 3C000004
	ds_read_b32 v61, v4 offset:41920                           // 000000004C4C: D86CA3C0 3D000004
	ds_read_b32 v62, v4 offset:41984                           // 000000004C54: D86CA400 3E000004
	ds_read_b32 v63, v4 offset:42048                           // 000000004C5C: D86CA440 3F000004
	ds_read_b32 v64, v4 offset:42112                           // 000000004C64: D86CA480 40000004
	buffer_load_dwordx4 v[164:167], v49, s[20:23], 0 offen     // 000000004C6C: E05C1000 8005A431
	ds_read_b32 v65, v4 offset:42176                           // 000000004C74: D86CA4C0 41000004
	ds_read_b32 v66, v4 offset:42240                           // 000000004C7C: D86CA500 42000004
	ds_read_b32 v67, v4 offset:42304                           // 000000004C84: D86CA540 43000004
	ds_read_b32 v68, v4 offset:42368                           // 000000004C8C: D86CA580 44000004
	ds_read_b32 v69, v4 offset:42432                           // 000000004C94: D86CA5C0 45000004
	ds_read_b32 v70, v4 offset:42496                           // 000000004C9C: D86CA600 46000004
	ds_read_b32 v71, v4 offset:42560                           // 000000004CA4: D86CA640 47000004
	buffer_load_dwordx4 v[168:171], v50, s[20:23], 0 offen     // 000000004CAC: E05C1000 8005A832
	s_waitcnt lgkmcnt(0)                                       // 000000004CB4: BF8CC07F
	v_max3_f32 v8, v56, v57, v8                                // 000000004CB8: D1D30008 04227338
	v_max3_f32 v8, v58, v59, v8                                // 000000004CC0: D1D30008 0422773A
	v_max3_f32 v8, v60, v61, v8                                // 000000004CC8: D1D30008 04227B3C
	v_max3_f32 v8, v62, v63, v8                                // 000000004CD0: D1D30008 04227F3E
	v_max3_f32 v8, v64, v65, v8                                // 000000004CD8: D1D30008 04228340
	v_max3_f32 v8, v66, v67, v8                                // 000000004CE0: D1D30008 04228742
	v_max3_f32 v8, v68, v69, v8                                // 000000004CE8: D1D30008 04228B44
	v_max3_f32 v8, v70, v71, v8                                // 000000004CF0: D1D30008 04228F46
	buffer_load_dwordx4 v[172:175], v51, s[20:23], 0 offen     // 000000004CF8: E05C1000 8005AC33
	v_cmp_eq_u32_e64 s[32:33], v11, v12                        // 000000004D00: D0CA0020 0002190B
	v_max_f32_e32 v13, v8, v12                                 // 000000004D08: 161A1908
	v_sub_f32_e32 v18, v12, v13                                // 000000004D0C: 04241B0C
	v_cndmask_b32_e64 v18, v18, 0, s[32:33]                    // 000000004D10: D1000012 00810112
	v_mov_b32_e32 v12, v13                                     // 000000004D18: 7E18030D
	v_mul_f32_e32 v9, s5, v13                                  // 000000004D1C: 0A121A05
	v_mul_f32_e32 v18, s5, v18                                 // 000000004D20: 0A242405
	v_exp_f32_e32 v18, v18                                     // 000000004D24: 7E244112
	buffer_load_dwordx4 v[176:179], v52, s[20:23], 0 offen     // 000000004D28: E05C1000 8005B034
	v_fma_f32 v88, v88, s5, -v9                                // 000000004D30: D1CB0058 84240B58
	v_fma_f32 v89, v89, s5, -v9                                // 000000004D38: D1CB0059 84240B59
	v_fma_f32 v90, v90, s5, -v9                                // 000000004D40: D1CB005A 84240B5A
	v_fma_f32 v91, v91, s5, -v9                                // 000000004D48: D1CB005B 84240B5B
	v_exp_f32_e32 v88, v88                                     // 000000004D50: 7EB04158
	v_exp_f32_e32 v89, v89                                     // 000000004D54: 7EB24159
	v_exp_f32_e32 v90, v90                                     // 000000004D58: 7EB4415A
	v_exp_f32_e32 v91, v91                                     // 000000004D5C: 7EB6415B
	buffer_load_dwordx4 v[180:183], v53, s[20:23], 0 offen     // 000000004D60: E05C1000 8005B435
	v_mul_f32_e32 v14, v18, v14                                // 000000004D68: 0A1C1D12
	v_mov_b32_e32 v15, v88                                     // 000000004D6C: 7E1E0358
	v_add_f32_e32 v15, v89, v15                                // 000000004D70: 021E1F59
	v_add_f32_e32 v15, v90, v15                                // 000000004D74: 021E1F5A
	v_add_f32_e32 v15, v91, v15                                // 000000004D78: 021E1F5B
	v_add_f32_e32 v14, v15, v14                                // 000000004D7C: 021C1D0F
	buffer_load_dwordx4 v[184:187], v54, s[20:23], 0 offen     // 000000004D80: E05C1000 8005B836
	v_cmp_u_f32_e64 s[32:33], v88, v88                         // 000000004D88: D0480020 0002B158
	v_add3_u32 v28, v88, v31, 1                                // 000000004D90: D1FF001C 02063F58
	v_cndmask_b32_e64 v32, v28, v30, s[32:33]                  // 000000004D98: D1000020 00823D1C
	v_cmp_u_f32_e64 s[32:33], v89, v89                         // 000000004DA0: D0480020 0002B359
	v_add3_u32 v28, v89, v31, 1                                // 000000004DA8: D1FF001C 02063F59
	v_cndmask_b32_e64 v33, v28, v30, s[32:33]                  // 000000004DB0: D1000021 00823D1C
	v_perm_b32 v88, v33, v32, s52                              // 000000004DB8: D1ED0058 00D24121
	v_cmp_u_f32_e64 s[32:33], v90, v90                         // 000000004DC0: D0480020 0002B55A
	v_add3_u32 v28, v90, v31, 1                                // 000000004DC8: D1FF001C 02063F5A
	v_cndmask_b32_e64 v32, v28, v30, s[32:33]                  // 000000004DD0: D1000020 00823D1C
	v_cmp_u_f32_e64 s[32:33], v91, v91                         // 000000004DD8: D0480020 0002B75B
	v_add3_u32 v28, v91, v31, 1                                // 000000004DE0: D1FF001C 02063F5B
	v_cndmask_b32_e64 v33, v28, v30, s[32:33]                  // 000000004DE8: D1000021 00823D1C
	v_perm_b32 v89, v33, v32, s52                              // 000000004DF0: D1ED0059 00D24121
	ds_write_b64 v7, v[88:89] offset:42624                     // 000000004DF8: D89AA680 00005807
	buffer_load_dwordx4 v[188:191], v55, s[20:23], 0 offen     // 000000004E00: E05C1000 8005BC37
	s_waitcnt lgkmcnt(0)                                       // 000000004E08: BF8CC07F
	s_barrier                                                  // 000000004E0C: BF8A0000
	ds_read_b64 v[88:89], v6 offset:42624                      // 000000004E10: D8ECA680 58000006
	ds_read_b64 v[90:91], v6 offset:42752                      // 000000004E18: D8ECA700 5A000006
	ds_read_b64 v[92:93], v6 offset:43648                      // 000000004E20: D8ECAA80 5C000006
	ds_read_b64 v[94:95], v6 offset:43776                      // 000000004E28: D8ECAB00 5E000006
	v_mul_u32_u24_dpp v40, v25, v10 row_newbcast:0 row_mask:0xf bank_mask:0xf// 000000004E30: 105014FA FF015019
	v_mul_u32_u24_dpp v41, v25, v10 row_newbcast:1 row_mask:0xf bank_mask:0xf// 000000004E38: 105214FA FF015119
	v_mul_u32_u24_dpp v42, v25, v10 row_newbcast:2 row_mask:0xf bank_mask:0xf// 000000004E40: 105414FA FF015219
	v_mul_u32_u24_dpp v43, v25, v10 row_newbcast:3 row_mask:0xf bank_mask:0xf// 000000004E48: 105614FA FF015319
	v_mul_u32_u24_dpp v44, v25, v10 row_newbcast:4 row_mask:0xf bank_mask:0xf// 000000004E50: 105814FA FF015419
	v_mul_u32_u24_dpp v45, v25, v10 row_newbcast:5 row_mask:0xf bank_mask:0xf// 000000004E58: 105A14FA FF015519
	v_mul_u32_u24_dpp v46, v25, v10 row_newbcast:6 row_mask:0xf bank_mask:0xf// 000000004E60: 105C14FA FF015619
	v_mul_u32_u24_dpp v47, v25, v10 row_newbcast:7 row_mask:0xf bank_mask:0xf// 000000004E68: 105E14FA FF015719
	v_mul_u32_u24_dpp v48, v25, v10 row_newbcast:8 row_mask:0xf bank_mask:0xf// 000000004E70: 106014FA FF015819
	v_mul_u32_u24_dpp v49, v25, v10 row_newbcast:9 row_mask:0xf bank_mask:0xf// 000000004E78: 106214FA FF015919
	v_mul_u32_u24_dpp v50, v25, v10 row_newbcast:10 row_mask:0xf bank_mask:0xf// 000000004E80: 106414FA FF015A19
	v_mul_u32_u24_dpp v51, v25, v10 row_newbcast:11 row_mask:0xf bank_mask:0xf// 000000004E88: 106614FA FF015B19
	v_mul_u32_u24_dpp v52, v25, v10 row_newbcast:12 row_mask:0xf bank_mask:0xf// 000000004E90: 106814FA FF015C19
	v_mul_u32_u24_dpp v53, v25, v10 row_newbcast:13 row_mask:0xf bank_mask:0xf// 000000004E98: 106A14FA FF015D19
	v_mul_u32_u24_dpp v54, v25, v10 row_newbcast:14 row_mask:0xf bank_mask:0xf// 000000004EA0: 106C14FA FF015E19
	v_mul_u32_u24_dpp v55, v25, v10 row_newbcast:15 row_mask:0xf bank_mask:0xf// 000000004EA8: 106E14FA FF015F19
	s_mov_b32 s56, m0                                          // 000000004EB0: BEB8007C
	s_set_gpr_idx_on s51, gpr_idx(SRC0)                        // 000000004EB4: BF110133
	v_add_u32_e32 v36, v40, v3                                 // 000000004EB8: 68480728
	v_add_u32_e32 v37, v41, v3                                 // 000000004EBC: 684A0729
	v_add_u32_e32 v38, v42, v3                                 // 000000004EC0: 684C072A
	v_add_u32_e32 v39, v43, v3                                 // 000000004EC4: 684E072B
	s_set_gpr_idx_off                                          // 000000004EC8: BF9C0000
	s_mov_b32 m0, s56                                          // 000000004ECC: BEFC0038
	v_add_u32_e32 v40, v40, v2                                 // 000000004ED0: 68500528
	v_add_u32_e32 v41, v41, v2                                 // 000000004ED4: 68520529
	v_add_u32_e32 v42, v42, v2                                 // 000000004ED8: 6854052A
	v_add_u32_e32 v43, v43, v2                                 // 000000004EDC: 6856052B
	v_add_u32_e32 v44, v44, v2                                 // 000000004EE0: 6858052C
	v_add_u32_e32 v45, v45, v2                                 // 000000004EE4: 685A052D
	v_add_u32_e32 v46, v46, v2                                 // 000000004EE8: 685C052E
	v_add_u32_e32 v47, v47, v2                                 // 000000004EEC: 685E052F
	v_add_u32_e32 v48, v48, v2                                 // 000000004EF0: 68600530
	v_add_u32_e32 v49, v49, v2                                 // 000000004EF4: 68620531
	v_add_u32_e32 v50, v50, v2                                 // 000000004EF8: 68640532
	v_add_u32_e32 v51, v51, v2                                 // 000000004EFC: 68660533
	v_add_u32_e32 v52, v52, v2                                 // 000000004F00: 68680534
	v_add_u32_e32 v53, v53, v2                                 // 000000004F04: 686A0535
	v_add_u32_e32 v54, v54, v2                                 // 000000004F08: 686C0536
	v_add_u32_e32 v55, v55, v2                                 // 000000004F0C: 686E0537
	s_waitcnt lgkmcnt(0)                                       // 000000004F10: BF8CC07F
	v_mul_f32_e32 v96, v18, v96                                // 000000004F14: 0AC0C112
	v_mul_f32_e32 v97, v18, v97                                // 000000004F18: 0AC2C312
	v_mul_f32_e32 v98, v18, v98                                // 000000004F1C: 0AC4C512
	v_mul_f32_e32 v99, v18, v99                                // 000000004F20: 0AC6C712
	v_mul_f32_e32 v100, v18, v100                              // 000000004F24: 0AC8C912
	v_mul_f32_e32 v101, v18, v101                              // 000000004F28: 0ACACB12
	v_mul_f32_e32 v102, v18, v102                              // 000000004F2C: 0ACCCD12
	v_mul_f32_e32 v103, v18, v103                              // 000000004F30: 0ACECF12
	v_mul_f32_e32 v104, v18, v104                              // 000000004F34: 0AD0D112
	v_mul_f32_e32 v105, v18, v105                              // 000000004F38: 0AD2D312
	v_mul_f32_e32 v106, v18, v106                              // 000000004F3C: 0AD4D512
	v_mul_f32_e32 v107, v18, v107                              // 000000004F40: 0AD6D712
	v_mul_f32_e32 v108, v18, v108                              // 000000004F44: 0AD8D912
	v_mul_f32_e32 v109, v18, v109                              // 000000004F48: 0ADADB12
	v_mul_f32_e32 v110, v18, v110                              // 000000004F4C: 0ADCDD12
	v_mul_f32_e32 v111, v18, v111                              // 000000004F50: 0ADEDF12
	v_mul_f32_e32 v112, v18, v112                              // 000000004F54: 0AE0E112
	v_mul_f32_e32 v113, v18, v113                              // 000000004F58: 0AE2E312
	v_mul_f32_e32 v114, v18, v114                              // 000000004F5C: 0AE4E512
	v_mul_f32_e32 v115, v18, v115                              // 000000004F60: 0AE6E712
	v_mul_f32_e32 v116, v18, v116                              // 000000004F64: 0AE8E912
	v_mul_f32_e32 v117, v18, v117                              // 000000004F68: 0AEAEB12
	v_mul_f32_e32 v118, v18, v118                              // 000000004F6C: 0AECED12
	v_mul_f32_e32 v119, v18, v119                              // 000000004F70: 0AEEEF12
	v_mul_f32_e32 v120, v18, v120                              // 000000004F74: 0AF0F112
	v_mul_f32_e32 v121, v18, v121                              // 000000004F78: 0AF2F312
	v_mul_f32_e32 v122, v18, v122                              // 000000004F7C: 0AF4F512
	v_mul_f32_e32 v123, v18, v123                              // 000000004F80: 0AF6F712
	v_mul_f32_e32 v124, v18, v124                              // 000000004F84: 0AF8F912
	v_mul_f32_e32 v125, v18, v125                              // 000000004F88: 0AFAFB12
	v_mul_f32_e32 v126, v18, v126                              // 000000004F8C: 0AFCFD12
	v_mul_f32_e32 v127, v18, v127                              // 000000004F90: 0AFEFF12
	s_waitcnt vmcnt(25)                                        // 000000004F94: BF8C4F79
	v_mfma_f32_16x16x16_bf16 v[96:99], a[144:145], v[88:89], v[96:99]// 000000004F98: D3E10060 0D82B190
	ds_write_b128 v20, v[224:227]                              // 000000004FA0: D9BE0000 0000E014
	v_mfma_f32_16x16x16_bf16 v[96:99], a[146:147], v[90:91], v[96:99]// 000000004FA8: D3E10060 0D82B592
	v_mfma_f32_16x16x16_bf16 v[96:99], a[148:149], v[92:93], v[96:99]// 000000004FB0: D3E10060 0D82B994
	ds_write_b128 v20, v[228:231] offset:8224                  // 000000004FB8: D9BE2020 0000E414
	v_mfma_f32_16x16x16_bf16 v[96:99], a[150:151], v[94:95], v[96:99]// 000000004FC0: D3E10060 0D82BD96
	v_mfma_f32_16x16x16_bf16 v[100:103], a[152:153], v[88:89], v[100:103]// 000000004FC8: D3E10064 0D92B198
	ds_write_b128 v20, v[232:235] offset:16448                 // 000000004FD0: D9BE4040 0000E814
	v_mfma_f32_16x16x16_bf16 v[100:103], a[154:155], v[90:91], v[100:103]// 000000004FD8: D3E10064 0D92B59A
	v_mfma_f32_16x16x16_bf16 v[100:103], a[156:157], v[92:93], v[100:103]// 000000004FE0: D3E10064 0D92B99C
	ds_write_b128 v20, v[236:239] offset:24672                 // 000000004FE8: D9BE6060 0000EC14
	v_mfma_f32_16x16x16_bf16 v[100:103], a[158:159], v[94:95], v[100:103]// 000000004FF0: D3E10064 0D92BD9E
	v_mfma_f32_16x16x16_bf16 v[104:107], a[160:161], v[88:89], v[104:107]// 000000004FF8: D3E10068 0DA2B1A0
	ds_write_b128 v20, v[240:243] offset:1024                  // 000000005000: D9BE0400 0000F014
	v_mfma_f32_16x16x16_bf16 v[104:107], a[162:163], v[90:91], v[104:107]// 000000005008: D3E10068 0DA2B5A2
	v_mfma_f32_16x16x16_bf16 v[104:107], a[164:165], v[92:93], v[104:107]// 000000005010: D3E10068 0DA2B9A4
	ds_write_b128 v20, v[244:247] offset:9248                  // 000000005018: D9BE2420 0000F414
	v_mfma_f32_16x16x16_bf16 v[104:107], a[166:167], v[94:95], v[104:107]// 000000005020: D3E10068 0DA2BDA6
	v_mfma_f32_16x16x16_bf16 v[108:111], a[168:169], v[88:89], v[108:111]// 000000005028: D3E1006C 0DB2B1A8
	ds_write_b128 v20, v[248:251] offset:17472                 // 000000005030: D9BE4440 0000F814
	v_mfma_f32_16x16x16_bf16 v[108:111], a[170:171], v[90:91], v[108:111]// 000000005038: D3E1006C 0DB2B5AA
	v_mfma_f32_16x16x16_bf16 v[108:111], a[172:173], v[92:93], v[108:111]// 000000005040: D3E1006C 0DB2B9AC
	ds_write_b128 v20, v[252:255] offset:25696                 // 000000005048: D9BE6460 0000FC14
	v_mfma_f32_16x16x16_bf16 v[108:111], a[174:175], v[94:95], v[108:111]// 000000005050: D3E1006C 0DB2BDAE
	v_mfma_f32_16x16x16_bf16 v[112:115], a[176:177], v[88:89], v[112:115]// 000000005058: D3E10070 0DC2B1B0
	ds_read_b64 a[136:137], v23 offset:32896                   // 000000005060: DAEC8080 88000017
	ds_read_b64 a[138:139], v23 offset:32904                   // 000000005068: DAEC8088 8A000017
	v_mfma_f32_16x16x16_bf16 v[112:115], a[178:179], v[90:91], v[112:115]// 000000005070: D3E10070 0DC2B5B2
	v_mfma_f32_16x16x16_bf16 v[112:115], a[180:181], v[92:93], v[112:115]// 000000005078: D3E10070 0DC2B9B4
	ds_read_b64 a[140:141], v23 offset:32960                   // 000000005080: DAEC80C0 8C000017
	ds_read_b64 a[142:143], v23 offset:32968                   // 000000005088: DAEC80C8 8E000017
	v_mfma_f32_16x16x16_bf16 v[112:115], a[182:183], v[94:95], v[112:115]// 000000005090: D3E10070 0DC2BDB6
	s_waitcnt lgkmcnt(8)                                       // 000000005098: BF8CC87F
	s_barrier                                                  // 00000000509C: BF8A0000
	v_mfma_f32_16x16x16_bf16 v[116:119], a[184:185], v[88:89], v[116:119]// 0000000050A0: D3E10074 0DD2B1B8
	ds_read_b128 a[72:75], v22                                 // 0000000050A8: DBFE0000 48000016
	v_mfma_f32_16x16x16_bf16 v[116:119], a[186:187], v[90:91], v[116:119]// 0000000050B0: D3E10074 0DD2B5BA
	ds_read_b128 a[76:79], v22 offset:64                       // 0000000050B8: DBFE0040 4C000016
	v_mfma_f32_16x16x16_bf16 v[116:119], a[188:189], v[92:93], v[116:119]// 0000000050C0: D3E10074 0DD2B9BC
	ds_read_b128 a[80:83], v22 offset:128                      // 0000000050C8: DBFE0080 50000016
	v_mfma_f32_16x16x16_bf16 v[116:119], a[190:191], v[94:95], v[116:119]// 0000000050D0: D3E10074 0DD2BDBE
	ds_read_b128 a[84:87], v22 offset:192                      // 0000000050D8: DBFE00C0 54000016
	v_mfma_f32_16x16x16_bf16 v[120:123], a[192:193], v[88:89], v[120:123]// 0000000050E0: D3E10078 0DE2B1C0
	ds_read_b128 a[88:91], v22 offset:256                      // 0000000050E8: DBFE0100 58000016
	v_mfma_f32_16x16x16_bf16 v[120:123], a[194:195], v[90:91], v[120:123]// 0000000050F0: D3E10078 0DE2B5C2
	ds_read_b128 a[92:95], v22 offset:320                      // 0000000050F8: DBFE0140 5C000016
	v_mfma_f32_16x16x16_bf16 v[120:123], a[196:197], v[92:93], v[120:123]// 000000005100: D3E10078 0DE2B9C4
	ds_read_b128 a[96:99], v22 offset:384                      // 000000005108: DBFE0180 60000016
	v_mfma_f32_16x16x16_bf16 v[120:123], a[198:199], v[94:95], v[120:123]// 000000005110: D3E10078 0DE2BDC6
	ds_read_b128 a[100:103], v22 offset:448                    // 000000005118: DBFE01C0 64000016
	v_mfma_f32_16x16x16_bf16 v[124:127], a[200:201], v[88:89], v[124:127]// 000000005120: D3E1007C 0DF2B1C8
	ds_read_b128 a[104:107], v22 offset:512                    // 000000005128: DBFE0200 68000016
	v_mfma_f32_16x16x16_bf16 v[124:127], a[202:203], v[90:91], v[124:127]// 000000005130: D3E1007C 0DF2B5CA
	ds_read_b128 a[108:111], v22 offset:576                    // 000000005138: DBFE0240 6C000016
	v_mfma_f32_16x16x16_bf16 v[124:127], a[204:205], v[92:93], v[124:127]// 000000005140: D3E1007C 0DF2B9CC
	ds_read_b128 a[112:115], v22 offset:640                    // 000000005148: DBFE0280 70000016
	v_mfma_f32_16x16x16_bf16 v[124:127], a[206:207], v[94:95], v[124:127]// 000000005150: D3E1007C 0DF2BDCE
	ds_read_b128 a[116:119], v22 offset:704                    // 000000005158: DBFE02C0 74000016
	ds_read_b128 a[120:123], v22 offset:768                    // 000000005160: DBFE0300 78000016
	ds_read_b128 a[124:127], v22 offset:832                    // 000000005168: DBFE0340 7C000016
	ds_read_b128 a[128:131], v22 offset:896                    // 000000005170: DBFE0380 80000016
	ds_read_b128 a[132:135], v22 offset:960                    // 000000005178: DBFE03C0 84000016
	v_perm_b32 v56, v196, v192, s53                            // 000000005180: D1ED0038 00D781C4
	v_perm_b32 v57, v196, v192, s52                            // 000000005188: D1ED0039 00D381C4
	v_perm_b32 v58, v204, v200, s53                            // 000000005190: D1ED003A 00D791CC
	v_perm_b32 v59, v204, v200, s52                            // 000000005198: D1ED003B 00D391CC
	v_perm_b32 v60, v212, v208, s53                            // 0000000051A0: D1ED003C 00D7A1D4
	v_perm_b32 v61, v212, v208, s52                            // 0000000051A8: D1ED003D 00D3A1D4
	v_perm_b32 v62, v220, v216, s53                            // 0000000051B0: D1ED003E 00D7B1DC
	v_perm_b32 v63, v220, v216, s52                            // 0000000051B8: D1ED003F 00D3B1DC
	v_accvgpr_write_b32 a144, v56                              // 0000000051C0: D3D94090 18000138
	v_accvgpr_write_b32 a152, v57                              // 0000000051C8: D3D94098 18000139
	v_accvgpr_write_b32 a145, v58                              // 0000000051D0: D3D94091 1800013A
	v_accvgpr_write_b32 a153, v59                              // 0000000051D8: D3D94099 1800013B
	v_accvgpr_write_b32 a146, v60                              // 0000000051E0: D3D94092 1800013C
	v_accvgpr_write_b32 a154, v61                              // 0000000051E8: D3D9409A 1800013D
	v_accvgpr_write_b32 a147, v62                              // 0000000051F0: D3D94093 1800013E
	v_accvgpr_write_b32 a155, v63                              // 0000000051F8: D3D9409B 1800013F
	v_perm_b32 v56, v228, v224, s53                            // 000000005200: D1ED0038 00D7C1E4
	v_perm_b32 v57, v228, v224, s52                            // 000000005208: D1ED0039 00D3C1E4
	v_perm_b32 v58, v236, v232, s53                            // 000000005210: D1ED003A 00D7D1EC
	v_perm_b32 v59, v236, v232, s52                            // 000000005218: D1ED003B 00D3D1EC
	v_perm_b32 v60, v244, v240, s53                            // 000000005220: D1ED003C 00D7E1F4
	v_perm_b32 v61, v244, v240, s52                            // 000000005228: D1ED003D 00D3E1F4
	v_perm_b32 v62, v252, v248, s53                            // 000000005230: D1ED003E 00D7F1FC
	v_perm_b32 v63, v252, v248, s52                            // 000000005238: D1ED003F 00D3F1FC
	v_accvgpr_write_b32 a148, v56                              // 000000005240: D3D94094 18000138
	v_accvgpr_write_b32 a156, v57                              // 000000005248: D3D9409C 18000139
	v_accvgpr_write_b32 a149, v58                              // 000000005250: D3D94095 1800013A
	v_accvgpr_write_b32 a157, v59                              // 000000005258: D3D9409D 1800013B
	v_accvgpr_write_b32 a150, v60                              // 000000005260: D3D94096 1800013C
	v_accvgpr_write_b32 a158, v61                              // 000000005268: D3D9409E 1800013D
	v_accvgpr_write_b32 a151, v62                              // 000000005270: D3D94097 1800013E
	v_accvgpr_write_b32 a159, v63                              // 000000005278: D3D9409F 1800013F
	v_perm_b32 v56, v197, v193, s53                            // 000000005280: D1ED0038 00D783C5
	v_perm_b32 v57, v197, v193, s52                            // 000000005288: D1ED0039 00D383C5
	v_perm_b32 v58, v205, v201, s53                            // 000000005290: D1ED003A 00D793CD
	v_perm_b32 v59, v205, v201, s52                            // 000000005298: D1ED003B 00D393CD
	v_perm_b32 v60, v213, v209, s53                            // 0000000052A0: D1ED003C 00D7A3D5
	v_perm_b32 v61, v213, v209, s52                            // 0000000052A8: D1ED003D 00D3A3D5
	v_perm_b32 v62, v221, v217, s53                            // 0000000052B0: D1ED003E 00D7B3DD
	v_perm_b32 v63, v221, v217, s52                            // 0000000052B8: D1ED003F 00D3B3DD
	v_accvgpr_write_b32 a160, v56                              // 0000000052C0: D3D940A0 18000138
	v_accvgpr_write_b32 a168, v57                              // 0000000052C8: D3D940A8 18000139
	v_accvgpr_write_b32 a161, v58                              // 0000000052D0: D3D940A1 1800013A
	v_accvgpr_write_b32 a169, v59                              // 0000000052D8: D3D940A9 1800013B
	v_accvgpr_write_b32 a162, v60                              // 0000000052E0: D3D940A2 1800013C
	v_accvgpr_write_b32 a170, v61                              // 0000000052E8: D3D940AA 1800013D
	v_accvgpr_write_b32 a163, v62                              // 0000000052F0: D3D940A3 1800013E
	v_accvgpr_write_b32 a171, v63                              // 0000000052F8: D3D940AB 1800013F
	v_perm_b32 v56, v229, v225, s53                            // 000000005300: D1ED0038 00D7C3E5
	v_perm_b32 v57, v229, v225, s52                            // 000000005308: D1ED0039 00D3C3E5
	v_perm_b32 v58, v237, v233, s53                            // 000000005310: D1ED003A 00D7D3ED
	v_perm_b32 v59, v237, v233, s52                            // 000000005318: D1ED003B 00D3D3ED
	v_perm_b32 v60, v245, v241, s53                            // 000000005320: D1ED003C 00D7E3F5
	v_perm_b32 v61, v245, v241, s52                            // 000000005328: D1ED003D 00D3E3F5
	v_perm_b32 v62, v253, v249, s53                            // 000000005330: D1ED003E 00D7F3FD
	v_perm_b32 v63, v253, v249, s52                            // 000000005338: D1ED003F 00D3F3FD
	v_accvgpr_write_b32 a164, v56                              // 000000005340: D3D940A4 18000138
	v_accvgpr_write_b32 a172, v57                              // 000000005348: D3D940AC 18000139
	v_accvgpr_write_b32 a165, v58                              // 000000005350: D3D940A5 1800013A
	v_accvgpr_write_b32 a173, v59                              // 000000005358: D3D940AD 1800013B
	v_accvgpr_write_b32 a166, v60                              // 000000005360: D3D940A6 1800013C
	v_accvgpr_write_b32 a174, v61                              // 000000005368: D3D940AE 1800013D
	v_accvgpr_write_b32 a167, v62                              // 000000005370: D3D940A7 1800013E
	v_accvgpr_write_b32 a175, v63                              // 000000005378: D3D940AF 1800013F
	v_perm_b32 v56, v198, v194, s53                            // 000000005380: D1ED0038 00D785C6
	v_perm_b32 v57, v198, v194, s52                            // 000000005388: D1ED0039 00D385C6
	v_perm_b32 v58, v206, v202, s53                            // 000000005390: D1ED003A 00D795CE
	v_perm_b32 v59, v206, v202, s52                            // 000000005398: D1ED003B 00D395CE
	v_perm_b32 v60, v214, v210, s53                            // 0000000053A0: D1ED003C 00D7A5D6
	v_perm_b32 v61, v214, v210, s52                            // 0000000053A8: D1ED003D 00D3A5D6
	v_perm_b32 v62, v222, v218, s53                            // 0000000053B0: D1ED003E 00D7B5DE
	v_perm_b32 v63, v222, v218, s52                            // 0000000053B8: D1ED003F 00D3B5DE
	v_accvgpr_write_b32 a176, v56                              // 0000000053C0: D3D940B0 18000138
	v_accvgpr_write_b32 a184, v57                              // 0000000053C8: D3D940B8 18000139
	v_accvgpr_write_b32 a177, v58                              // 0000000053D0: D3D940B1 1800013A
	v_accvgpr_write_b32 a185, v59                              // 0000000053D8: D3D940B9 1800013B
	v_accvgpr_write_b32 a178, v60                              // 0000000053E0: D3D940B2 1800013C
	v_accvgpr_write_b32 a186, v61                              // 0000000053E8: D3D940BA 1800013D
	v_accvgpr_write_b32 a179, v62                              // 0000000053F0: D3D940B3 1800013E
	v_accvgpr_write_b32 a187, v63                              // 0000000053F8: D3D940BB 1800013F
	v_perm_b32 v56, v230, v226, s53                            // 000000005400: D1ED0038 00D7C5E6
	v_perm_b32 v57, v230, v226, s52                            // 000000005408: D1ED0039 00D3C5E6
	v_perm_b32 v58, v238, v234, s53                            // 000000005410: D1ED003A 00D7D5EE
	v_perm_b32 v59, v238, v234, s52                            // 000000005418: D1ED003B 00D3D5EE
	v_perm_b32 v60, v246, v242, s53                            // 000000005420: D1ED003C 00D7E5F6
	v_perm_b32 v61, v246, v242, s52                            // 000000005428: D1ED003D 00D3E5F6
	v_perm_b32 v62, v254, v250, s53                            // 000000005430: D1ED003E 00D7F5FE
	v_perm_b32 v63, v254, v250, s52                            // 000000005438: D1ED003F 00D3F5FE
	v_accvgpr_write_b32 a180, v56                              // 000000005440: D3D940B4 18000138
	v_accvgpr_write_b32 a188, v57                              // 000000005448: D3D940BC 18000139
	v_accvgpr_write_b32 a181, v58                              // 000000005450: D3D940B5 1800013A
	v_accvgpr_write_b32 a189, v59                              // 000000005458: D3D940BD 1800013B
	v_accvgpr_write_b32 a182, v60                              // 000000005460: D3D940B6 1800013C
	v_accvgpr_write_b32 a190, v61                              // 000000005468: D3D940BE 1800013D
	v_accvgpr_write_b32 a183, v62                              // 000000005470: D3D940B7 1800013E
	v_accvgpr_write_b32 a191, v63                              // 000000005478: D3D940BF 1800013F
	v_perm_b32 v56, v199, v195, s53                            // 000000005480: D1ED0038 00D787C7
	v_perm_b32 v57, v199, v195, s52                            // 000000005488: D1ED0039 00D387C7
	v_perm_b32 v58, v207, v203, s53                            // 000000005490: D1ED003A 00D797CF
	v_perm_b32 v59, v207, v203, s52                            // 000000005498: D1ED003B 00D397CF
	v_perm_b32 v60, v215, v211, s53                            // 0000000054A0: D1ED003C 00D7A7D7
	v_perm_b32 v61, v215, v211, s52                            // 0000000054A8: D1ED003D 00D3A7D7
	v_perm_b32 v62, v223, v219, s53                            // 0000000054B0: D1ED003E 00D7B7DF
	v_perm_b32 v63, v223, v219, s52                            // 0000000054B8: D1ED003F 00D3B7DF
	v_accvgpr_write_b32 a192, v56                              // 0000000054C0: D3D940C0 18000138
	v_accvgpr_write_b32 a200, v57                              // 0000000054C8: D3D940C8 18000139
	v_accvgpr_write_b32 a193, v58                              // 0000000054D0: D3D940C1 1800013A
	v_accvgpr_write_b32 a201, v59                              // 0000000054D8: D3D940C9 1800013B
	v_accvgpr_write_b32 a194, v60                              // 0000000054E0: D3D940C2 1800013C
	v_accvgpr_write_b32 a202, v61                              // 0000000054E8: D3D940CA 1800013D
	v_accvgpr_write_b32 a195, v62                              // 0000000054F0: D3D940C3 1800013E
	v_accvgpr_write_b32 a203, v63                              // 0000000054F8: D3D940CB 1800013F
	v_perm_b32 v56, v231, v227, s53                            // 000000005500: D1ED0038 00D7C7E7
	v_perm_b32 v57, v231, v227, s52                            // 000000005508: D1ED0039 00D3C7E7
	v_perm_b32 v58, v239, v235, s53                            // 000000005510: D1ED003A 00D7D7EF
	v_perm_b32 v59, v239, v235, s52                            // 000000005518: D1ED003B 00D3D7EF
	v_perm_b32 v60, v247, v243, s53                            // 000000005520: D1ED003C 00D7E7F7
	v_perm_b32 v61, v247, v243, s52                            // 000000005528: D1ED003D 00D3E7F7
	v_perm_b32 v62, v255, v251, s53                            // 000000005530: D1ED003E 00D7F7FF
	v_perm_b32 v63, v255, v251, s52                            // 000000005538: D1ED003F 00D3F7FF
	v_accvgpr_write_b32 a196, v56                              // 000000005540: D3D940C4 18000138
	v_accvgpr_write_b32 a204, v57                              // 000000005548: D3D940CC 18000139
	v_accvgpr_write_b32 a197, v58                              // 000000005550: D3D940C5 1800013A
	v_accvgpr_write_b32 a205, v59                              // 000000005558: D3D940CD 1800013B
	v_accvgpr_write_b32 a198, v60                              // 000000005560: D3D940C6 1800013C
	v_accvgpr_write_b32 a206, v61                              // 000000005568: D3D940CE 1800013D
	v_accvgpr_write_b32 a199, v62                              // 000000005570: D3D940C7 1800013E
	v_accvgpr_write_b32 a207, v63                              // 000000005578: D3D940CF 1800013F
	s_addk_i32 s70, 0x1                                        // 000000005580: B7460001
	s_cmp_lt_i32 s70, s71                                      // 000000005584: BF044746
	s_cbranch_scc0 label_0A2B                                  // 000000005588: BF84FD08
	s_waitcnt vmcnt(8) lgkmcnt(0)                              // 00000000558C: BF8C0078
	s_barrier                                                  // 000000005590: BF8A0000
	v_mfma_f32_16x16x16_bf16 v[88:91], a[72:73], a[0:1], 0     // 000000005594: D3E10058 1A020148
	buffer_load_dwordx4 v[192:195], v40, s[20:23], 0 offen     // 00000000559C: E05C1000 8005C028
	v_mfma_f32_16x16x16_bf16 v[88:91], a[74:75], a[2:3], v[88:91]// 0000000055A4: D3E10058 1D62054A
	ds_write_b128 v20, v[128:131]                              // 0000000055AC: D9BE0000 00008014
	v_mfma_f32_16x16x16_bf16 v[88:91], a[76:77], a[4:5], v[88:91]// 0000000055B4: D3E10058 1D62094C
	buffer_load_dword v25, v26, s[24:27], 0 offen              // 0000000055BC: E0501000 8006191A
	v_mfma_f32_16x16x16_bf16 v[88:91], a[78:79], a[6:7], v[88:91]// 0000000055C4: D3E10058 1D620D4E
	ds_write_b128 v20, v[132:135] offset:8224                  // 0000000055CC: D9BE2020 00008414
	v_mfma_f32_16x16x16_bf16 v[88:91], a[80:81], a[8:9], v[88:91]// 0000000055D4: D3E10058 1D621150
	buffer_load_dwordx4 v[196:199], v41, s[20:23], 0 offen     // 0000000055DC: E05C1000 8005C429
	v_mfma_f32_16x16x16_bf16 v[88:91], a[82:83], a[10:11], v[88:91]// 0000000055E4: D3E10058 1D621552
	ds_write_b128 v20, v[136:139] offset:16448                 // 0000000055EC: D9BE4040 00008814
	v_mfma_f32_16x16x16_bf16 v[88:91], a[84:85], a[12:13], v[88:91]// 0000000055F4: D3E10058 1D621954
	v_mfma_f32_16x16x16_bf16 v[88:91], a[86:87], a[14:15], v[88:91]// 0000000055FC: D3E10058 1D621D56
	ds_write_b128 v20, v[140:143] offset:24672                 // 000000005604: D9BE6060 00008C14
	v_mfma_f32_16x16x16_bf16 v[88:91], a[88:89], a[16:17], v[88:91]// 00000000560C: D3E10058 1D622158
	buffer_load_dwordx4 v[200:203], v42, s[20:23], 0 offen     // 000000005614: E05C1000 8005C82A
	v_mfma_f32_16x16x16_bf16 v[88:91], a[90:91], a[18:19], v[88:91]// 00000000561C: D3E10058 1D62255A
	ds_write_b128 v20, v[144:147] offset:1024                  // 000000005624: D9BE0400 00009014
	v_mfma_f32_16x16x16_bf16 v[88:91], a[92:93], a[20:21], v[88:91]// 00000000562C: D3E10058 1D62295C
	v_mfma_f32_16x16x16_bf16 v[88:91], a[94:95], a[22:23], v[88:91]// 000000005634: D3E10058 1D622D5E
	ds_write_b128 v20, v[148:151] offset:9248                  // 00000000563C: D9BE2420 00009414
	v_mfma_f32_16x16x16_bf16 v[88:91], a[96:97], a[24:25], v[88:91]// 000000005644: D3E10058 1D623160
	buffer_load_dwordx4 v[204:207], v43, s[20:23], 0 offen     // 00000000564C: E05C1000 8005CC2B
	v_mfma_f32_16x16x16_bf16 v[88:91], a[98:99], a[26:27], v[88:91]// 000000005654: D3E10058 1D623562
	ds_write_b128 v20, v[152:155] offset:17472                 // 00000000565C: D9BE4440 00009814
	v_mfma_f32_16x16x16_bf16 v[88:91], a[100:101], a[28:29], v[88:91]// 000000005664: D3E10058 1D623964
	v_mfma_f32_16x16x16_bf16 v[88:91], a[102:103], a[30:31], v[88:91]// 00000000566C: D3E10058 1D623D66
	ds_write_b128 v20, v[156:159] offset:25696                 // 000000005674: D9BE6460 00009C14
	v_mfma_f32_16x16x16_bf16 v[88:91], a[104:105], a[32:33], v[88:91]// 00000000567C: D3E10058 1D624168
	buffer_load_dwordx4 v[208:211], v44, s[20:23], 0 offen     // 000000005684: E05C1000 8005D02C
	v_mfma_f32_16x16x16_bf16 v[88:91], a[106:107], a[34:35], v[88:91]// 00000000568C: D3E10058 1D62456A
	ds_write_b32 v21, v72 offset:32896                         // 000000005694: D81A8080 00004815
	ds_write_b32 v21, v73 offset:32960                         // 00000000569C: D81A80C0 00004915
	v_mfma_f32_16x16x16_bf16 v[88:91], a[108:109], a[36:37], v[88:91]// 0000000056A4: D3E10058 1D62496C
	v_mfma_f32_16x16x16_bf16 v[88:91], a[110:111], a[38:39], v[88:91]// 0000000056AC: D3E10058 1D624D6E
	ds_write_b32 v21, v74 offset:33032                         // 0000000056B4: D81A8108 00004A15
	ds_write_b32 v21, v75 offset:33096                         // 0000000056BC: D81A8148 00004B15
	v_mfma_f32_16x16x16_bf16 v[88:91], a[112:113], a[40:41], v[88:91]// 0000000056C4: D3E10058 1D625170
	buffer_load_dwordx4 v[212:215], v45, s[20:23], 0 offen     // 0000000056CC: E05C1000 8005D42D
	v_mfma_f32_16x16x16_bf16 v[88:91], a[114:115], a[42:43], v[88:91]// 0000000056D4: D3E10058 1D625572
	ds_write_b32 v21, v76 offset:33168                         // 0000000056DC: D81A8190 00004C15
	ds_write_b32 v21, v77 offset:33232                         // 0000000056E4: D81A81D0 00004D15
	v_mfma_f32_16x16x16_bf16 v[88:91], a[116:117], a[44:45], v[88:91]// 0000000056EC: D3E10058 1D625974
	v_mfma_f32_16x16x16_bf16 v[88:91], a[118:119], a[46:47], v[88:91]// 0000000056F4: D3E10058 1D625D76
	ds_write_b32 v21, v78 offset:33304                         // 0000000056FC: D81A8218 00004E15
	ds_write_b32 v21, v79 offset:33368                         // 000000005704: D81A8258 00004F15
	s_waitcnt lgkmcnt(8)                                       // 00000000570C: BF8CC87F
	s_barrier                                                  // 000000005710: BF8A0000
	v_mfma_f32_16x16x16_bf16 v[88:91], a[120:121], a[48:49], v[88:91]// 000000005714: D3E10058 1D626178
	buffer_load_dwordx4 v[216:219], v46, s[20:23], 0 offen     // 00000000571C: E05C1000 8005D82E
	v_mfma_f32_16x16x16_bf16 v[88:91], a[122:123], a[50:51], v[88:91]// 000000005724: D3E10058 1D62657A
	v_mfma_f32_16x16x16_bf16 v[88:91], a[124:125], a[52:53], v[88:91]// 00000000572C: D3E10058 1D62697C
	v_mfma_f32_16x16x16_bf16 v[88:91], a[126:127], a[54:55], v[88:91]// 000000005734: D3E10058 1D626D7E
	v_mfma_f32_16x16x16_bf16 v[88:91], a[128:129], a[56:57], v[88:91]// 00000000573C: D3E10058 1D627180
	buffer_load_dwordx4 v[220:223], v47, s[20:23], 0 offen     // 000000005744: E05C1000 8005DC2F
	v_mfma_f32_16x16x16_bf16 v[88:91], a[130:131], a[58:59], v[88:91]// 00000000574C: D3E10058 1D627582
	v_mfma_f32_16x16x16_bf16 v[88:91], a[132:133], a[60:61], v[88:91]// 000000005754: D3E10058 1D627984
	v_mfma_f32_16x16x16_bf16 v[88:91], a[134:135], a[62:63], v[88:91]// 00000000575C: D3E10058 1D627D86
	v_mfma_f32_16x16x16_bf16 v[88:91], a[136:137], a[64:65], v[88:91]// 000000005764: D3E10058 1D628188
	buffer_load_dword v80, v36, s[20:23], 0 offen              // 00000000576C: E0501000 80055024
	buffer_load_dword v81, v36, s[20:23], 0 offen offset:64    // 000000005774: E0501040 80055124
	v_mfma_f32_16x16x16_bf16 v[88:91], a[138:139], a[66:67], v[88:91]// 00000000577C: D3E10058 1D62858A
	v_mfma_f32_16x16x16_bf16 v[88:91], a[140:141], a[68:69], v[88:91]// 000000005784: D3E10058 1D62898C
	buffer_load_dword v82, v37, s[20:23], 0 offen              // 00000000578C: E0501000 80055225
	buffer_load_dword v83, v37, s[20:23], 0 offen offset:64    // 000000005794: E0501040 80055325
	v_mfma_f32_16x16x16_bf16 v[88:91], a[142:143], a[70:71], v[88:91]// 00000000579C: D3E10058 1D628D8E
	v_add_u32_e32 v26, s73, v26                                // 0000000057A4: 68343449
	buffer_load_dword v84, v38, s[20:23], 0 offen              // 0000000057A8: E0501000 80055426
	buffer_load_dword v85, v38, s[20:23], 0 offen offset:64    // 0000000057B0: E0501040 80055526
	s_nop 8                                                    // 0000000057B8: BF800008
	v_mov_b32_e32 v8, v88                                      // 0000000057BC: 7E100358
	v_max3_f32 v8, v88, v89, v8                                // 0000000057C0: D1D30008 0422B358
	v_max3_f32 v8, v90, v91, v8                                // 0000000057C8: D1D30008 0422B75A
	ds_write_b32 v5, v8 offset:41600                           // 0000000057D0: D81AA280 00000805
	buffer_load_dword v86, v39, s[20:23], 0 offen              // 0000000057D8: E0501000 80055627
	buffer_load_dword v87, v39, s[20:23], 0 offen offset:64    // 0000000057E0: E0501040 80055727
	s_waitcnt lgkmcnt(0)                                       // 0000000057E8: BF8CC07F
	s_barrier                                                  // 0000000057EC: BF8A0000
	ds_read_b32 v56, v4 offset:41600                           // 0000000057F0: D86CA280 38000004
	buffer_load_dwordx4 v[224:227], v48, s[20:23], 0 offen     // 0000000057F8: E05C1000 8005E030
	ds_read_b32 v57, v4 offset:41664                           // 000000005800: D86CA2C0 39000004
	ds_read_b32 v58, v4 offset:41728                           // 000000005808: D86CA300 3A000004
	ds_read_b32 v59, v4 offset:41792                           // 000000005810: D86CA340 3B000004
	ds_read_b32 v60, v4 offset:41856                           // 000000005818: D86CA380 3C000004
	ds_read_b32 v61, v4 offset:41920                           // 000000005820: D86CA3C0 3D000004
	ds_read_b32 v62, v4 offset:41984                           // 000000005828: D86CA400 3E000004
	ds_read_b32 v63, v4 offset:42048                           // 000000005830: D86CA440 3F000004
	ds_read_b32 v64, v4 offset:42112                           // 000000005838: D86CA480 40000004
	buffer_load_dwordx4 v[228:231], v49, s[20:23], 0 offen     // 000000005840: E05C1000 8005E431
	ds_read_b32 v65, v4 offset:42176                           // 000000005848: D86CA4C0 41000004
	ds_read_b32 v66, v4 offset:42240                           // 000000005850: D86CA500 42000004
	ds_read_b32 v67, v4 offset:42304                           // 000000005858: D86CA540 43000004
	ds_read_b32 v68, v4 offset:42368                           // 000000005860: D86CA580 44000004
	ds_read_b32 v69, v4 offset:42432                           // 000000005868: D86CA5C0 45000004
	ds_read_b32 v70, v4 offset:42496                           // 000000005870: D86CA600 46000004
	ds_read_b32 v71, v4 offset:42560                           // 000000005878: D86CA640 47000004
	buffer_load_dwordx4 v[232:235], v50, s[20:23], 0 offen     // 000000005880: E05C1000 8005E832
	s_waitcnt lgkmcnt(0)                                       // 000000005888: BF8CC07F
	v_max3_f32 v8, v56, v57, v8                                // 00000000588C: D1D30008 04227338
	v_max3_f32 v8, v58, v59, v8                                // 000000005894: D1D30008 0422773A
	v_max3_f32 v8, v60, v61, v8                                // 00000000589C: D1D30008 04227B3C
	v_max3_f32 v8, v62, v63, v8                                // 0000000058A4: D1D30008 04227F3E
	v_max3_f32 v8, v64, v65, v8                                // 0000000058AC: D1D30008 04228340
	v_max3_f32 v8, v66, v67, v8                                // 0000000058B4: D1D30008 04228742
	v_max3_f32 v8, v68, v69, v8                                // 0000000058BC: D1D30008 04228B44
	v_max3_f32 v8, v70, v71, v8                                // 0000000058C4: D1D30008 04228F46
	buffer_load_dwordx4 v[236:239], v51, s[20:23], 0 offen     // 0000000058CC: E05C1000 8005EC33
	v_cmp_eq_u32_e64 s[32:33], v11, v12                        // 0000000058D4: D0CA0020 0002190B
	v_max_f32_e32 v13, v8, v12                                 // 0000000058DC: 161A1908
	v_sub_f32_e32 v18, v12, v13                                // 0000000058E0: 04241B0C
	v_cndmask_b32_e64 v18, v18, 0, s[32:33]                    // 0000000058E4: D1000012 00810112
	v_mov_b32_e32 v12, v13                                     // 0000000058EC: 7E18030D
	v_mul_f32_e32 v9, s5, v13                                  // 0000000058F0: 0A121A05
	v_mul_f32_e32 v18, s5, v18                                 // 0000000058F4: 0A242405
	v_exp_f32_e32 v18, v18                                     // 0000000058F8: 7E244112
	buffer_load_dwordx4 v[240:243], v52, s[20:23], 0 offen     // 0000000058FC: E05C1000 8005F034
	v_fma_f32 v88, v88, s5, -v9                                // 000000005904: D1CB0058 84240B58
	v_fma_f32 v89, v89, s5, -v9                                // 00000000590C: D1CB0059 84240B59
	v_fma_f32 v90, v90, s5, -v9                                // 000000005914: D1CB005A 84240B5A
	v_fma_f32 v91, v91, s5, -v9                                // 00000000591C: D1CB005B 84240B5B
	v_exp_f32_e32 v88, v88                                     // 000000005924: 7EB04158
	v_exp_f32_e32 v89, v89                                     // 000000005928: 7EB24159
	v_exp_f32_e32 v90, v90                                     // 00000000592C: 7EB4415A
	v_exp_f32_e32 v91, v91                                     // 000000005930: 7EB6415B
	buffer_load_dwordx4 v[244:247], v53, s[20:23], 0 offen     // 000000005934: E05C1000 8005F435
	v_mul_f32_e32 v14, v18, v14                                // 00000000593C: 0A1C1D12
	v_mov_b32_e32 v15, v88                                     // 000000005940: 7E1E0358
	v_add_f32_e32 v15, v89, v15                                // 000000005944: 021E1F59
	v_add_f32_e32 v15, v90, v15                                // 000000005948: 021E1F5A
	v_add_f32_e32 v15, v91, v15                                // 00000000594C: 021E1F5B
	v_add_f32_e32 v14, v15, v14                                // 000000005950: 021C1D0F
	buffer_load_dwordx4 v[248:251], v54, s[20:23], 0 offen     // 000000005954: E05C1000 8005F836
	v_cmp_u_f32_e64 s[32:33], v88, v88                         // 00000000595C: D0480020 0002B158
	v_add3_u32 v28, v88, v31, 1                                // 000000005964: D1FF001C 02063F58
	v_cndmask_b32_e64 v32, v28, v30, s[32:33]                  // 00000000596C: D1000020 00823D1C
	v_cmp_u_f32_e64 s[32:33], v89, v89                         // 000000005974: D0480020 0002B359
	v_add3_u32 v28, v89, v31, 1                                // 00000000597C: D1FF001C 02063F59
	v_cndmask_b32_e64 v33, v28, v30, s[32:33]                  // 000000005984: D1000021 00823D1C
	v_perm_b32 v88, v33, v32, s52                              // 00000000598C: D1ED0058 00D24121
	v_cmp_u_f32_e64 s[32:33], v90, v90                         // 000000005994: D0480020 0002B55A
	v_add3_u32 v28, v90, v31, 1                                // 00000000599C: D1FF001C 02063F5A
	v_cndmask_b32_e64 v32, v28, v30, s[32:33]                  // 0000000059A4: D1000020 00823D1C
	v_cmp_u_f32_e64 s[32:33], v91, v91                         // 0000000059AC: D0480020 0002B75B
	v_add3_u32 v28, v91, v31, 1                                // 0000000059B4: D1FF001C 02063F5B
	v_cndmask_b32_e64 v33, v28, v30, s[32:33]                  // 0000000059BC: D1000021 00823D1C
	v_perm_b32 v89, v33, v32, s52                              // 0000000059C4: D1ED0059 00D24121
	ds_write_b64 v7, v[88:89] offset:42624                     // 0000000059CC: D89AA680 00005807
	buffer_load_dwordx4 v[252:255], v55, s[20:23], 0 offen     // 0000000059D4: E05C1000 8005FC37
	s_waitcnt lgkmcnt(0)                                       // 0000000059DC: BF8CC07F
	s_barrier                                                  // 0000000059E0: BF8A0000
	ds_read_b64 v[88:89], v6 offset:42624                      // 0000000059E4: D8ECA680 58000006
	ds_read_b64 v[90:91], v6 offset:42752                      // 0000000059EC: D8ECA700 5A000006
	ds_read_b64 v[92:93], v6 offset:43648                      // 0000000059F4: D8ECAA80 5C000006
	ds_read_b64 v[94:95], v6 offset:43776                      // 0000000059FC: D8ECAB00 5E000006
	v_mul_u32_u24_dpp v40, v24, v10 row_newbcast:0 row_mask:0xf bank_mask:0xf// 000000005A04: 105014FA FF015018
	v_mul_u32_u24_dpp v41, v24, v10 row_newbcast:1 row_mask:0xf bank_mask:0xf// 000000005A0C: 105214FA FF015118
	v_mul_u32_u24_dpp v42, v24, v10 row_newbcast:2 row_mask:0xf bank_mask:0xf// 000000005A14: 105414FA FF015218
	v_mul_u32_u24_dpp v43, v24, v10 row_newbcast:3 row_mask:0xf bank_mask:0xf// 000000005A1C: 105614FA FF015318
	v_mul_u32_u24_dpp v44, v24, v10 row_newbcast:4 row_mask:0xf bank_mask:0xf// 000000005A24: 105814FA FF015418
	v_mul_u32_u24_dpp v45, v24, v10 row_newbcast:5 row_mask:0xf bank_mask:0xf// 000000005A2C: 105A14FA FF015518
	v_mul_u32_u24_dpp v46, v24, v10 row_newbcast:6 row_mask:0xf bank_mask:0xf// 000000005A34: 105C14FA FF015618
	v_mul_u32_u24_dpp v47, v24, v10 row_newbcast:7 row_mask:0xf bank_mask:0xf// 000000005A3C: 105E14FA FF015718
	v_mul_u32_u24_dpp v48, v24, v10 row_newbcast:8 row_mask:0xf bank_mask:0xf// 000000005A44: 106014FA FF015818
	v_mul_u32_u24_dpp v49, v24, v10 row_newbcast:9 row_mask:0xf bank_mask:0xf// 000000005A4C: 106214FA FF015918
	v_mul_u32_u24_dpp v50, v24, v10 row_newbcast:10 row_mask:0xf bank_mask:0xf// 000000005A54: 106414FA FF015A18
	v_mul_u32_u24_dpp v51, v24, v10 row_newbcast:11 row_mask:0xf bank_mask:0xf// 000000005A5C: 106614FA FF015B18
	v_mul_u32_u24_dpp v52, v24, v10 row_newbcast:12 row_mask:0xf bank_mask:0xf// 000000005A64: 106814FA FF015C18
	v_mul_u32_u24_dpp v53, v24, v10 row_newbcast:13 row_mask:0xf bank_mask:0xf// 000000005A6C: 106A14FA FF015D18
	v_mul_u32_u24_dpp v54, v24, v10 row_newbcast:14 row_mask:0xf bank_mask:0xf// 000000005A74: 106C14FA FF015E18
	v_mul_u32_u24_dpp v55, v24, v10 row_newbcast:15 row_mask:0xf bank_mask:0xf// 000000005A7C: 106E14FA FF015F18
	s_mov_b32 s56, m0                                          // 000000005A84: BEB8007C
	s_set_gpr_idx_on s51, gpr_idx(SRC0)                        // 000000005A88: BF110133
	v_add_u32_e32 v36, v40, v3                                 // 000000005A8C: 68480728
	v_add_u32_e32 v37, v41, v3                                 // 000000005A90: 684A0729
	v_add_u32_e32 v38, v42, v3                                 // 000000005A94: 684C072A
	v_add_u32_e32 v39, v43, v3                                 // 000000005A98: 684E072B
	s_set_gpr_idx_off                                          // 000000005A9C: BF9C0000
	s_mov_b32 m0, s56                                          // 000000005AA0: BEFC0038
	v_add_u32_e32 v40, v40, v2                                 // 000000005AA4: 68500528
	v_add_u32_e32 v41, v41, v2                                 // 000000005AA8: 68520529
	v_add_u32_e32 v42, v42, v2                                 // 000000005AAC: 6854052A
	v_add_u32_e32 v43, v43, v2                                 // 000000005AB0: 6856052B
	v_add_u32_e32 v44, v44, v2                                 // 000000005AB4: 6858052C
	v_add_u32_e32 v45, v45, v2                                 // 000000005AB8: 685A052D
	v_add_u32_e32 v46, v46, v2                                 // 000000005ABC: 685C052E
	v_add_u32_e32 v47, v47, v2                                 // 000000005AC0: 685E052F
	v_add_u32_e32 v48, v48, v2                                 // 000000005AC4: 68600530
	v_add_u32_e32 v49, v49, v2                                 // 000000005AC8: 68620531
	v_add_u32_e32 v50, v50, v2                                 // 000000005ACC: 68640532
	v_add_u32_e32 v51, v51, v2                                 // 000000005AD0: 68660533
	v_add_u32_e32 v52, v52, v2                                 // 000000005AD4: 68680534
	v_add_u32_e32 v53, v53, v2                                 // 000000005AD8: 686A0535
	v_add_u32_e32 v54, v54, v2                                 // 000000005ADC: 686C0536
	v_add_u32_e32 v55, v55, v2                                 // 000000005AE0: 686E0537
	s_waitcnt lgkmcnt(0)                                       // 000000005AE4: BF8CC07F
	v_mul_f32_e32 v96, v18, v96                                // 000000005AE8: 0AC0C112
	v_mul_f32_e32 v97, v18, v97                                // 000000005AEC: 0AC2C312
	v_mul_f32_e32 v98, v18, v98                                // 000000005AF0: 0AC4C512
	v_mul_f32_e32 v99, v18, v99                                // 000000005AF4: 0AC6C712
	v_mul_f32_e32 v100, v18, v100                              // 000000005AF8: 0AC8C912
	v_mul_f32_e32 v101, v18, v101                              // 000000005AFC: 0ACACB12
	v_mul_f32_e32 v102, v18, v102                              // 000000005B00: 0ACCCD12
	v_mul_f32_e32 v103, v18, v103                              // 000000005B04: 0ACECF12
	v_mul_f32_e32 v104, v18, v104                              // 000000005B08: 0AD0D112
	v_mul_f32_e32 v105, v18, v105                              // 000000005B0C: 0AD2D312
	v_mul_f32_e32 v106, v18, v106                              // 000000005B10: 0AD4D512
	v_mul_f32_e32 v107, v18, v107                              // 000000005B14: 0AD6D712
	v_mul_f32_e32 v108, v18, v108                              // 000000005B18: 0AD8D912
	v_mul_f32_e32 v109, v18, v109                              // 000000005B1C: 0ADADB12
	v_mul_f32_e32 v110, v18, v110                              // 000000005B20: 0ADCDD12
	v_mul_f32_e32 v111, v18, v111                              // 000000005B24: 0ADEDF12
	v_mul_f32_e32 v112, v18, v112                              // 000000005B28: 0AE0E112
	v_mul_f32_e32 v113, v18, v113                              // 000000005B2C: 0AE2E312
	v_mul_f32_e32 v114, v18, v114                              // 000000005B30: 0AE4E512
	v_mul_f32_e32 v115, v18, v115                              // 000000005B34: 0AE6E712
	v_mul_f32_e32 v116, v18, v116                              // 000000005B38: 0AE8E912
	v_mul_f32_e32 v117, v18, v117                              // 000000005B3C: 0AEAEB12
	v_mul_f32_e32 v118, v18, v118                              // 000000005B40: 0AECED12
	v_mul_f32_e32 v119, v18, v119                              // 000000005B44: 0AEEEF12
	v_mul_f32_e32 v120, v18, v120                              // 000000005B48: 0AF0F112
	v_mul_f32_e32 v121, v18, v121                              // 000000005B4C: 0AF2F312
	v_mul_f32_e32 v122, v18, v122                              // 000000005B50: 0AF4F512
	v_mul_f32_e32 v123, v18, v123                              // 000000005B54: 0AF6F712
	v_mul_f32_e32 v124, v18, v124                              // 000000005B58: 0AF8F912
	v_mul_f32_e32 v125, v18, v125                              // 000000005B5C: 0AFAFB12
	v_mul_f32_e32 v126, v18, v126                              // 000000005B60: 0AFCFD12
	v_mul_f32_e32 v127, v18, v127                              // 000000005B64: 0AFEFF12
	s_waitcnt vmcnt(25)                                        // 000000005B68: BF8C4F79
	v_mfma_f32_16x16x16_bf16 v[96:99], a[144:145], v[88:89], v[96:99]// 000000005B6C: D3E10060 0D82B190
	ds_write_b128 v20, v[160:163]                              // 000000005B74: D9BE0000 0000A014
	v_mfma_f32_16x16x16_bf16 v[96:99], a[146:147], v[90:91], v[96:99]// 000000005B7C: D3E10060 0D82B592
	v_mfma_f32_16x16x16_bf16 v[96:99], a[148:149], v[92:93], v[96:99]// 000000005B84: D3E10060 0D82B994
	ds_write_b128 v20, v[164:167] offset:8224                  // 000000005B8C: D9BE2020 0000A414
	v_mfma_f32_16x16x16_bf16 v[96:99], a[150:151], v[94:95], v[96:99]// 000000005B94: D3E10060 0D82BD96
	v_mfma_f32_16x16x16_bf16 v[100:103], a[152:153], v[88:89], v[100:103]// 000000005B9C: D3E10064 0D92B198
	ds_write_b128 v20, v[168:171] offset:16448                 // 000000005BA4: D9BE4040 0000A814
	v_mfma_f32_16x16x16_bf16 v[100:103], a[154:155], v[90:91], v[100:103]// 000000005BAC: D3E10064 0D92B59A
	v_mfma_f32_16x16x16_bf16 v[100:103], a[156:157], v[92:93], v[100:103]// 000000005BB4: D3E10064 0D92B99C
	ds_write_b128 v20, v[172:175] offset:24672                 // 000000005BBC: D9BE6060 0000AC14
	v_mfma_f32_16x16x16_bf16 v[100:103], a[158:159], v[94:95], v[100:103]// 000000005BC4: D3E10064 0D92BD9E
	v_mfma_f32_16x16x16_bf16 v[104:107], a[160:161], v[88:89], v[104:107]// 000000005BCC: D3E10068 0DA2B1A0
	ds_write_b128 v20, v[176:179] offset:1024                  // 000000005BD4: D9BE0400 0000B014
	v_mfma_f32_16x16x16_bf16 v[104:107], a[162:163], v[90:91], v[104:107]// 000000005BDC: D3E10068 0DA2B5A2
	v_mfma_f32_16x16x16_bf16 v[104:107], a[164:165], v[92:93], v[104:107]// 000000005BE4: D3E10068 0DA2B9A4
	ds_write_b128 v20, v[180:183] offset:9248                  // 000000005BEC: D9BE2420 0000B414
	v_mfma_f32_16x16x16_bf16 v[104:107], a[166:167], v[94:95], v[104:107]// 000000005BF4: D3E10068 0DA2BDA6
	v_mfma_f32_16x16x16_bf16 v[108:111], a[168:169], v[88:89], v[108:111]// 000000005BFC: D3E1006C 0DB2B1A8
	ds_write_b128 v20, v[184:187] offset:17472                 // 000000005C04: D9BE4440 0000B814
	v_mfma_f32_16x16x16_bf16 v[108:111], a[170:171], v[90:91], v[108:111]// 000000005C0C: D3E1006C 0DB2B5AA
	v_mfma_f32_16x16x16_bf16 v[108:111], a[172:173], v[92:93], v[108:111]// 000000005C14: D3E1006C 0DB2B9AC
	ds_write_b128 v20, v[188:191] offset:25696                 // 000000005C1C: D9BE6460 0000BC14
	v_mfma_f32_16x16x16_bf16 v[108:111], a[174:175], v[94:95], v[108:111]// 000000005C24: D3E1006C 0DB2BDAE
	v_mfma_f32_16x16x16_bf16 v[112:115], a[176:177], v[88:89], v[112:115]// 000000005C2C: D3E10070 0DC2B1B0
	ds_read_b64 a[136:137], v23 offset:32896                   // 000000005C34: DAEC8080 88000017
	ds_read_b64 a[138:139], v23 offset:32904                   // 000000005C3C: DAEC8088 8A000017
	v_mfma_f32_16x16x16_bf16 v[112:115], a[178:179], v[90:91], v[112:115]// 000000005C44: D3E10070 0DC2B5B2
	v_mfma_f32_16x16x16_bf16 v[112:115], a[180:181], v[92:93], v[112:115]// 000000005C4C: D3E10070 0DC2B9B4
	ds_read_b64 a[140:141], v23 offset:32960                   // 000000005C54: DAEC80C0 8C000017
	ds_read_b64 a[142:143], v23 offset:32968                   // 000000005C5C: DAEC80C8 8E000017
	v_mfma_f32_16x16x16_bf16 v[112:115], a[182:183], v[94:95], v[112:115]// 000000005C64: D3E10070 0DC2BDB6
	s_waitcnt lgkmcnt(8)                                       // 000000005C6C: BF8CC87F
	s_barrier                                                  // 000000005C70: BF8A0000
	v_mfma_f32_16x16x16_bf16 v[116:119], a[184:185], v[88:89], v[116:119]// 000000005C74: D3E10074 0DD2B1B8
	ds_read_b128 a[72:75], v22                                 // 000000005C7C: DBFE0000 48000016
	v_mfma_f32_16x16x16_bf16 v[116:119], a[186:187], v[90:91], v[116:119]// 000000005C84: D3E10074 0DD2B5BA
	ds_read_b128 a[76:79], v22 offset:64                       // 000000005C8C: DBFE0040 4C000016
	v_mfma_f32_16x16x16_bf16 v[116:119], a[188:189], v[92:93], v[116:119]// 000000005C94: D3E10074 0DD2B9BC
	ds_read_b128 a[80:83], v22 offset:128                      // 000000005C9C: DBFE0080 50000016
	v_mfma_f32_16x16x16_bf16 v[116:119], a[190:191], v[94:95], v[116:119]// 000000005CA4: D3E10074 0DD2BDBE
	ds_read_b128 a[84:87], v22 offset:192                      // 000000005CAC: DBFE00C0 54000016
	v_mfma_f32_16x16x16_bf16 v[120:123], a[192:193], v[88:89], v[120:123]// 000000005CB4: D3E10078 0DE2B1C0
	ds_read_b128 a[88:91], v22 offset:256                      // 000000005CBC: DBFE0100 58000016
	v_mfma_f32_16x16x16_bf16 v[120:123], a[194:195], v[90:91], v[120:123]// 000000005CC4: D3E10078 0DE2B5C2
	ds_read_b128 a[92:95], v22 offset:320                      // 000000005CCC: DBFE0140 5C000016
	v_mfma_f32_16x16x16_bf16 v[120:123], a[196:197], v[92:93], v[120:123]// 000000005CD4: D3E10078 0DE2B9C4
	ds_read_b128 a[96:99], v22 offset:384                      // 000000005CDC: DBFE0180 60000016
	v_mfma_f32_16x16x16_bf16 v[120:123], a[198:199], v[94:95], v[120:123]// 000000005CE4: D3E10078 0DE2BDC6
	ds_read_b128 a[100:103], v22 offset:448                    // 000000005CEC: DBFE01C0 64000016
	v_mfma_f32_16x16x16_bf16 v[124:127], a[200:201], v[88:89], v[124:127]// 000000005CF4: D3E1007C 0DF2B1C8
	ds_read_b128 a[104:107], v22 offset:512                    // 000000005CFC: DBFE0200 68000016
	v_mfma_f32_16x16x16_bf16 v[124:127], a[202:203], v[90:91], v[124:127]// 000000005D04: D3E1007C 0DF2B5CA
	ds_read_b128 a[108:111], v22 offset:576                    // 000000005D0C: DBFE0240 6C000016
	v_mfma_f32_16x16x16_bf16 v[124:127], a[204:205], v[92:93], v[124:127]// 000000005D14: D3E1007C 0DF2B9CC
	ds_read_b128 a[112:115], v22 offset:640                    // 000000005D1C: DBFE0280 70000016
	v_mfma_f32_16x16x16_bf16 v[124:127], a[206:207], v[94:95], v[124:127]// 000000005D24: D3E1007C 0DF2BDCE
	ds_read_b128 a[116:119], v22 offset:704                    // 000000005D2C: DBFE02C0 74000016
	ds_read_b128 a[120:123], v22 offset:768                    // 000000005D34: DBFE0300 78000016
	ds_read_b128 a[124:127], v22 offset:832                    // 000000005D3C: DBFE0340 7C000016
	ds_read_b128 a[128:131], v22 offset:896                    // 000000005D44: DBFE0380 80000016
	ds_read_b128 a[132:135], v22 offset:960                    // 000000005D4C: DBFE03C0 84000016
	v_perm_b32 v56, v132, v128, s53                            // 000000005D54: D1ED0038 00D70184
	v_perm_b32 v57, v132, v128, s52                            // 000000005D5C: D1ED0039 00D30184
	v_perm_b32 v58, v140, v136, s53                            // 000000005D64: D1ED003A 00D7118C
	v_perm_b32 v59, v140, v136, s52                            // 000000005D6C: D1ED003B 00D3118C
	v_perm_b32 v60, v148, v144, s53                            // 000000005D74: D1ED003C 00D72194
	v_perm_b32 v61, v148, v144, s52                            // 000000005D7C: D1ED003D 00D32194
	v_perm_b32 v62, v156, v152, s53                            // 000000005D84: D1ED003E 00D7319C
	v_perm_b32 v63, v156, v152, s52                            // 000000005D8C: D1ED003F 00D3319C
	v_accvgpr_write_b32 a144, v56                              // 000000005D94: D3D94090 18000138
	v_accvgpr_write_b32 a152, v57                              // 000000005D9C: D3D94098 18000139
	v_accvgpr_write_b32 a145, v58                              // 000000005DA4: D3D94091 1800013A
	v_accvgpr_write_b32 a153, v59                              // 000000005DAC: D3D94099 1800013B
	v_accvgpr_write_b32 a146, v60                              // 000000005DB4: D3D94092 1800013C
	v_accvgpr_write_b32 a154, v61                              // 000000005DBC: D3D9409A 1800013D
	v_accvgpr_write_b32 a147, v62                              // 000000005DC4: D3D94093 1800013E
	v_accvgpr_write_b32 a155, v63                              // 000000005DCC: D3D9409B 1800013F
	v_perm_b32 v56, v164, v160, s53                            // 000000005DD4: D1ED0038 00D741A4
	v_perm_b32 v57, v164, v160, s52                            // 000000005DDC: D1ED0039 00D341A4
	v_perm_b32 v58, v172, v168, s53                            // 000000005DE4: D1ED003A 00D751AC
	v_perm_b32 v59, v172, v168, s52                            // 000000005DEC: D1ED003B 00D351AC
	v_perm_b32 v60, v180, v176, s53                            // 000000005DF4: D1ED003C 00D761B4
	v_perm_b32 v61, v180, v176, s52                            // 000000005DFC: D1ED003D 00D361B4
	v_perm_b32 v62, v188, v184, s53                            // 000000005E04: D1ED003E 00D771BC
	v_perm_b32 v63, v188, v184, s52                            // 000000005E0C: D1ED003F 00D371BC
	v_accvgpr_write_b32 a148, v56                              // 000000005E14: D3D94094 18000138
	v_accvgpr_write_b32 a156, v57                              // 000000005E1C: D3D9409C 18000139
	v_accvgpr_write_b32 a149, v58                              // 000000005E24: D3D94095 1800013A
	v_accvgpr_write_b32 a157, v59                              // 000000005E2C: D3D9409D 1800013B
	v_accvgpr_write_b32 a150, v60                              // 000000005E34: D3D94096 1800013C
	v_accvgpr_write_b32 a158, v61                              // 000000005E3C: D3D9409E 1800013D
	v_accvgpr_write_b32 a151, v62                              // 000000005E44: D3D94097 1800013E
	v_accvgpr_write_b32 a159, v63                              // 000000005E4C: D3D9409F 1800013F
	v_perm_b32 v56, v133, v129, s53                            // 000000005E54: D1ED0038 00D70385
	v_perm_b32 v57, v133, v129, s52                            // 000000005E5C: D1ED0039 00D30385
	v_perm_b32 v58, v141, v137, s53                            // 000000005E64: D1ED003A 00D7138D
	v_perm_b32 v59, v141, v137, s52                            // 000000005E6C: D1ED003B 00D3138D
	v_perm_b32 v60, v149, v145, s53                            // 000000005E74: D1ED003C 00D72395
	v_perm_b32 v61, v149, v145, s52                            // 000000005E7C: D1ED003D 00D32395
	v_perm_b32 v62, v157, v153, s53                            // 000000005E84: D1ED003E 00D7339D
	v_perm_b32 v63, v157, v153, s52                            // 000000005E8C: D1ED003F 00D3339D
	v_accvgpr_write_b32 a160, v56                              // 000000005E94: D3D940A0 18000138
	v_accvgpr_write_b32 a168, v57                              // 000000005E9C: D3D940A8 18000139
	v_accvgpr_write_b32 a161, v58                              // 000000005EA4: D3D940A1 1800013A
	v_accvgpr_write_b32 a169, v59                              // 000000005EAC: D3D940A9 1800013B
	v_accvgpr_write_b32 a162, v60                              // 000000005EB4: D3D940A2 1800013C
	v_accvgpr_write_b32 a170, v61                              // 000000005EBC: D3D940AA 1800013D
	v_accvgpr_write_b32 a163, v62                              // 000000005EC4: D3D940A3 1800013E
	v_accvgpr_write_b32 a171, v63                              // 000000005ECC: D3D940AB 1800013F
	v_perm_b32 v56, v165, v161, s53                            // 000000005ED4: D1ED0038 00D743A5
	v_perm_b32 v57, v165, v161, s52                            // 000000005EDC: D1ED0039 00D343A5
	v_perm_b32 v58, v173, v169, s53                            // 000000005EE4: D1ED003A 00D753AD
	v_perm_b32 v59, v173, v169, s52                            // 000000005EEC: D1ED003B 00D353AD
	v_perm_b32 v60, v181, v177, s53                            // 000000005EF4: D1ED003C 00D763B5
	v_perm_b32 v61, v181, v177, s52                            // 000000005EFC: D1ED003D 00D363B5
	v_perm_b32 v62, v189, v185, s53                            // 000000005F04: D1ED003E 00D773BD
	v_perm_b32 v63, v189, v185, s52                            // 000000005F0C: D1ED003F 00D373BD
	v_accvgpr_write_b32 a164, v56                              // 000000005F14: D3D940A4 18000138
	v_accvgpr_write_b32 a172, v57                              // 000000005F1C: D3D940AC 18000139
	v_accvgpr_write_b32 a165, v58                              // 000000005F24: D3D940A5 1800013A
	v_accvgpr_write_b32 a173, v59                              // 000000005F2C: D3D940AD 1800013B
	v_accvgpr_write_b32 a166, v60                              // 000000005F34: D3D940A6 1800013C
	v_accvgpr_write_b32 a174, v61                              // 000000005F3C: D3D940AE 1800013D
	v_accvgpr_write_b32 a167, v62                              // 000000005F44: D3D940A7 1800013E
	v_accvgpr_write_b32 a175, v63                              // 000000005F4C: D3D940AF 1800013F
	v_perm_b32 v56, v134, v130, s53                            // 000000005F54: D1ED0038 00D70586
	v_perm_b32 v57, v134, v130, s52                            // 000000005F5C: D1ED0039 00D30586
	v_perm_b32 v58, v142, v138, s53                            // 000000005F64: D1ED003A 00D7158E
	v_perm_b32 v59, v142, v138, s52                            // 000000005F6C: D1ED003B 00D3158E
	v_perm_b32 v60, v150, v146, s53                            // 000000005F74: D1ED003C 00D72596
	v_perm_b32 v61, v150, v146, s52                            // 000000005F7C: D1ED003D 00D32596
	v_perm_b32 v62, v158, v154, s53                            // 000000005F84: D1ED003E 00D7359E
	v_perm_b32 v63, v158, v154, s52                            // 000000005F8C: D1ED003F 00D3359E
	v_accvgpr_write_b32 a176, v56                              // 000000005F94: D3D940B0 18000138
	v_accvgpr_write_b32 a184, v57                              // 000000005F9C: D3D940B8 18000139
	v_accvgpr_write_b32 a177, v58                              // 000000005FA4: D3D940B1 1800013A
	v_accvgpr_write_b32 a185, v59                              // 000000005FAC: D3D940B9 1800013B
	v_accvgpr_write_b32 a178, v60                              // 000000005FB4: D3D940B2 1800013C
	v_accvgpr_write_b32 a186, v61                              // 000000005FBC: D3D940BA 1800013D
	v_accvgpr_write_b32 a179, v62                              // 000000005FC4: D3D940B3 1800013E
	v_accvgpr_write_b32 a187, v63                              // 000000005FCC: D3D940BB 1800013F
	v_perm_b32 v56, v166, v162, s53                            // 000000005FD4: D1ED0038 00D745A6
	v_perm_b32 v57, v166, v162, s52                            // 000000005FDC: D1ED0039 00D345A6
	v_perm_b32 v58, v174, v170, s53                            // 000000005FE4: D1ED003A 00D755AE
	v_perm_b32 v59, v174, v170, s52                            // 000000005FEC: D1ED003B 00D355AE
	v_perm_b32 v60, v182, v178, s53                            // 000000005FF4: D1ED003C 00D765B6
	v_perm_b32 v61, v182, v178, s52                            // 000000005FFC: D1ED003D 00D365B6
	v_perm_b32 v62, v190, v186, s53                            // 000000006004: D1ED003E 00D775BE
	v_perm_b32 v63, v190, v186, s52                            // 00000000600C: D1ED003F 00D375BE
	v_accvgpr_write_b32 a180, v56                              // 000000006014: D3D940B4 18000138
	v_accvgpr_write_b32 a188, v57                              // 00000000601C: D3D940BC 18000139
	v_accvgpr_write_b32 a181, v58                              // 000000006024: D3D940B5 1800013A
	v_accvgpr_write_b32 a189, v59                              // 00000000602C: D3D940BD 1800013B
	v_accvgpr_write_b32 a182, v60                              // 000000006034: D3D940B6 1800013C
	v_accvgpr_write_b32 a190, v61                              // 00000000603C: D3D940BE 1800013D
	v_accvgpr_write_b32 a183, v62                              // 000000006044: D3D940B7 1800013E
	v_accvgpr_write_b32 a191, v63                              // 00000000604C: D3D940BF 1800013F
	v_perm_b32 v56, v135, v131, s53                            // 000000006054: D1ED0038 00D70787
	v_perm_b32 v57, v135, v131, s52                            // 00000000605C: D1ED0039 00D30787
	v_perm_b32 v58, v143, v139, s53                            // 000000006064: D1ED003A 00D7178F
	v_perm_b32 v59, v143, v139, s52                            // 00000000606C: D1ED003B 00D3178F
	v_perm_b32 v60, v151, v147, s53                            // 000000006074: D1ED003C 00D72797
	v_perm_b32 v61, v151, v147, s52                            // 00000000607C: D1ED003D 00D32797
	v_perm_b32 v62, v159, v155, s53                            // 000000006084: D1ED003E 00D7379F
	v_perm_b32 v63, v159, v155, s52                            // 00000000608C: D1ED003F 00D3379F
	v_accvgpr_write_b32 a192, v56                              // 000000006094: D3D940C0 18000138
	v_accvgpr_write_b32 a200, v57                              // 00000000609C: D3D940C8 18000139
	v_accvgpr_write_b32 a193, v58                              // 0000000060A4: D3D940C1 1800013A
	v_accvgpr_write_b32 a201, v59                              // 0000000060AC: D3D940C9 1800013B
	v_accvgpr_write_b32 a194, v60                              // 0000000060B4: D3D940C2 1800013C
	v_accvgpr_write_b32 a202, v61                              // 0000000060BC: D3D940CA 1800013D
	v_accvgpr_write_b32 a195, v62                              // 0000000060C4: D3D940C3 1800013E
	v_accvgpr_write_b32 a203, v63                              // 0000000060CC: D3D940CB 1800013F
	v_perm_b32 v56, v167, v163, s53                            // 0000000060D4: D1ED0038 00D747A7
	v_perm_b32 v57, v167, v163, s52                            // 0000000060DC: D1ED0039 00D347A7
	v_perm_b32 v58, v175, v171, s53                            // 0000000060E4: D1ED003A 00D757AF
	v_perm_b32 v59, v175, v171, s52                            // 0000000060EC: D1ED003B 00D357AF
	v_perm_b32 v60, v183, v179, s53                            // 0000000060F4: D1ED003C 00D767B7
	v_perm_b32 v61, v183, v179, s52                            // 0000000060FC: D1ED003D 00D367B7
	v_perm_b32 v62, v191, v187, s53                            // 000000006104: D1ED003E 00D777BF
	v_perm_b32 v63, v191, v187, s52                            // 00000000610C: D1ED003F 00D377BF
	v_accvgpr_write_b32 a196, v56                              // 000000006114: D3D940C4 18000138
	v_accvgpr_write_b32 a204, v57                              // 00000000611C: D3D940CC 18000139
	v_accvgpr_write_b32 a197, v58                              // 000000006124: D3D940C5 1800013A
	v_accvgpr_write_b32 a205, v59                              // 00000000612C: D3D940CD 1800013B
	v_accvgpr_write_b32 a198, v60                              // 000000006134: D3D940C6 1800013C
	v_accvgpr_write_b32 a206, v61                              // 00000000613C: D3D940CE 1800013D
	v_accvgpr_write_b32 a199, v62                              // 000000006144: D3D940C7 1800013E
	v_accvgpr_write_b32 a207, v63                              // 00000000614C: D3D940CF 1800013F
	s_addk_i32 s70, 0x1                                        // 000000006154: B7460001
	s_cmp_lt_i32 s70, s71                                      // 000000006158: BF044746
	s_cbranch_scc0 label_0A2B                                  // 00000000615C: BF84FA13
	s_branch label_0A2E                                        // 000000006160: BF82FA15

0000000000006164 <label_1019>:
	s_cmp_eq_i32 s48, 0                                        // 000000006164: BF008030
	s_cbranch_scc1 label_1352                                  // 000000006168: BF850315

000000000000616c <label_101B>:
	s_and_b32 s56, s71, 1                                      // 00000000616C: 86388147
	s_cmp_eq_i32 s56, 1                                        // 000000006170: BF008138
	s_cbranch_scc1 label_11A7                                  // 000000006174: BF850189
	s_waitcnt vmcnt(0) expcnt(0) lgkmcnt(0)                    // 000000006178: BF8C0000
	s_barrier                                                  // 00000000617C: BF8A0000
	v_mfma_f32_16x16x16_bf16 v[88:91], a[72:73], a[0:1], 0     // 000000006180: D3E10058 1A020148
	v_mfma_f32_16x16x16_bf16 v[88:91], a[74:75], a[2:3], v[88:91]// 000000006188: D3E10058 1D62054A
	v_mfma_f32_16x16x16_bf16 v[88:91], a[76:77], a[4:5], v[88:91]// 000000006190: D3E10058 1D62094C
	v_mfma_f32_16x16x16_bf16 v[88:91], a[78:79], a[6:7], v[88:91]// 000000006198: D3E10058 1D620D4E
	v_mfma_f32_16x16x16_bf16 v[88:91], a[80:81], a[8:9], v[88:91]// 0000000061A0: D3E10058 1D621150
	v_mfma_f32_16x16x16_bf16 v[88:91], a[82:83], a[10:11], v[88:91]// 0000000061A8: D3E10058 1D621552
	v_mfma_f32_16x16x16_bf16 v[88:91], a[84:85], a[12:13], v[88:91]// 0000000061B0: D3E10058 1D621954
	v_mfma_f32_16x16x16_bf16 v[88:91], a[86:87], a[14:15], v[88:91]// 0000000061B8: D3E10058 1D621D56
	v_mfma_f32_16x16x16_bf16 v[88:91], a[88:89], a[16:17], v[88:91]// 0000000061C0: D3E10058 1D622158
	v_mfma_f32_16x16x16_bf16 v[88:91], a[90:91], a[18:19], v[88:91]// 0000000061C8: D3E10058 1D62255A
	v_mfma_f32_16x16x16_bf16 v[88:91], a[92:93], a[20:21], v[88:91]// 0000000061D0: D3E10058 1D62295C
	v_mfma_f32_16x16x16_bf16 v[88:91], a[94:95], a[22:23], v[88:91]// 0000000061D8: D3E10058 1D622D5E
	v_mfma_f32_16x16x16_bf16 v[88:91], a[96:97], a[24:25], v[88:91]// 0000000061E0: D3E10058 1D623160
	v_mfma_f32_16x16x16_bf16 v[88:91], a[98:99], a[26:27], v[88:91]// 0000000061E8: D3E10058 1D623562
	v_mfma_f32_16x16x16_bf16 v[88:91], a[100:101], a[28:29], v[88:91]// 0000000061F0: D3E10058 1D623964
	v_mfma_f32_16x16x16_bf16 v[88:91], a[102:103], a[30:31], v[88:91]// 0000000061F8: D3E10058 1D623D66
	v_mfma_f32_16x16x16_bf16 v[88:91], a[104:105], a[32:33], v[88:91]// 000000006200: D3E10058 1D624168
	v_mfma_f32_16x16x16_bf16 v[88:91], a[106:107], a[34:35], v[88:91]// 000000006208: D3E10058 1D62456A
	v_mfma_f32_16x16x16_bf16 v[88:91], a[108:109], a[36:37], v[88:91]// 000000006210: D3E10058 1D62496C
	v_mfma_f32_16x16x16_bf16 v[88:91], a[110:111], a[38:39], v[88:91]// 000000006218: D3E10058 1D624D6E
	v_mfma_f32_16x16x16_bf16 v[88:91], a[112:113], a[40:41], v[88:91]// 000000006220: D3E10058 1D625170
	v_mfma_f32_16x16x16_bf16 v[88:91], a[114:115], a[42:43], v[88:91]// 000000006228: D3E10058 1D625572
	v_mfma_f32_16x16x16_bf16 v[88:91], a[116:117], a[44:45], v[88:91]// 000000006230: D3E10058 1D625974
	v_mfma_f32_16x16x16_bf16 v[88:91], a[118:119], a[46:47], v[88:91]// 000000006238: D3E10058 1D625D76
	v_mfma_f32_16x16x16_bf16 v[88:91], a[120:121], a[48:49], v[88:91]// 000000006240: D3E10058 1D626178
	v_mfma_f32_16x16x16_bf16 v[88:91], a[122:123], a[50:51], v[88:91]// 000000006248: D3E10058 1D62657A
	v_mfma_f32_16x16x16_bf16 v[88:91], a[124:125], a[52:53], v[88:91]// 000000006250: D3E10058 1D62697C
	v_mfma_f32_16x16x16_bf16 v[88:91], a[126:127], a[54:55], v[88:91]// 000000006258: D3E10058 1D626D7E
	v_mfma_f32_16x16x16_bf16 v[88:91], a[128:129], a[56:57], v[88:91]// 000000006260: D3E10058 1D627180
	v_mfma_f32_16x16x16_bf16 v[88:91], a[130:131], a[58:59], v[88:91]// 000000006268: D3E10058 1D627582
	v_mfma_f32_16x16x16_bf16 v[88:91], a[132:133], a[60:61], v[88:91]// 000000006270: D3E10058 1D627984
	v_mfma_f32_16x16x16_bf16 v[88:91], a[134:135], a[62:63], v[88:91]// 000000006278: D3E10058 1D627D86
	v_mfma_f32_16x16x16_bf16 v[88:91], a[136:137], a[64:65], v[88:91]// 000000006280: D3E10058 1D628188
	v_mfma_f32_16x16x16_bf16 v[88:91], a[138:139], a[66:67], v[88:91]// 000000006288: D3E10058 1D62858A
	v_mfma_f32_16x16x16_bf16 v[88:91], a[140:141], a[68:69], v[88:91]// 000000006290: D3E10058 1D62898C
	v_mfma_f32_16x16x16_bf16 v[88:91], a[142:143], a[70:71], v[88:91]// 000000006298: D3E10058 1D628D8E
	s_nop 8                                                    // 0000000062A0: BF800008
	s_and_b32 s56, s48, 0xff                                   // 0000000062A4: 8638FF30 000000FF
	v_mov_b32_e32 v43, s56                                     // 0000000062AC: 7E560238
	v_lshrrev_b32_e32 v44, 4, v0                               // 0000000062B0: 20580084
	v_mul_i32_i24_e32 v44, 4, v44                              // 0000000062B4: 0C585884
	s_mul_i32 s56, s7, 16                                      // 0000000062B8: 92389007
	v_add_u32_e32 v44, s56, v44                                // 0000000062BC: 68585838
	v_add_u32_e32 v45, 1, v44                                  // 0000000062C0: 685A5881
	v_add_u32_e32 v46, 2, v44                                  // 0000000062C4: 685C5882
	v_add_u32_e32 v47, 3, v44                                  // 0000000062C8: 685E5883
	v_cmp_lt_u32_e64 s[32:33], v44, v43                        // 0000000062CC: D0C90020 0002572C
	v_add_u32_e32 v44, 64, v44                                 // 0000000062D4: 685858C0
	s_nop 0                                                    // 0000000062D8: BF800000
	v_cndmask_b32_e64 v88, v11, v88, s[32:33]                  // 0000000062DC: D1000058 0082B10B
	v_cmp_lt_u32_e64 s[32:33], v45, v43                        // 0000000062E4: D0C90020 0002572D
	v_add_u32_e32 v45, 64, v45                                 // 0000000062EC: 685A5AC0
	s_nop 0                                                    // 0000000062F0: BF800000
	v_cndmask_b32_e64 v89, v11, v89, s[32:33]                  // 0000000062F4: D1000059 0082B30B
	v_cmp_lt_u32_e64 s[32:33], v46, v43                        // 0000000062FC: D0C90020 0002572E
	v_add_u32_e32 v46, 64, v46                                 // 000000006304: 685C5CC0
	s_nop 0                                                    // 000000006308: BF800000
	v_cndmask_b32_e64 v90, v11, v90, s[32:33]                  // 00000000630C: D100005A 0082B50B
	v_cmp_lt_u32_e64 s[32:33], v47, v43                        // 000000006314: D0C90020 0002572F
	v_add_u32_e32 v47, 64, v47                                 // 00000000631C: 685E5EC0
	s_nop 0                                                    // 000000006320: BF800000
	v_cndmask_b32_e64 v91, v11, v91, s[32:33]                  // 000000006324: D100005B 0082B70B
	s_nop 8                                                    // 00000000632C: BF800008
	v_mov_b32_e32 v8, v88                                      // 000000006330: 7E100358
	v_max3_f32 v8, v88, v89, v8                                // 000000006334: D1D30008 0422B358
	v_max3_f32 v8, v90, v91, v8                                // 00000000633C: D1D30008 0422B75A
	ds_write_b32 v5, v8 offset:41600                           // 000000006344: D81AA280 00000805
	s_waitcnt lgkmcnt(0)                                       // 00000000634C: BF8CC07F
	s_barrier                                                  // 000000006350: BF8A0000
	ds_read_b32 v56, v4 offset:41600                           // 000000006354: D86CA280 38000004
	ds_read_b32 v57, v4 offset:41664                           // 00000000635C: D86CA2C0 39000004
	ds_read_b32 v58, v4 offset:41728                           // 000000006364: D86CA300 3A000004
	ds_read_b32 v59, v4 offset:41792                           // 00000000636C: D86CA340 3B000004
	ds_read_b32 v60, v4 offset:41856                           // 000000006374: D86CA380 3C000004
	ds_read_b32 v61, v4 offset:41920                           // 00000000637C: D86CA3C0 3D000004
	ds_read_b32 v62, v4 offset:41984                           // 000000006384: D86CA400 3E000004
	ds_read_b32 v63, v4 offset:42048                           // 00000000638C: D86CA440 3F000004
	ds_read_b32 v64, v4 offset:42112                           // 000000006394: D86CA480 40000004
	ds_read_b32 v65, v4 offset:42176                           // 00000000639C: D86CA4C0 41000004
	ds_read_b32 v66, v4 offset:42240                           // 0000000063A4: D86CA500 42000004
	ds_read_b32 v67, v4 offset:42304                           // 0000000063AC: D86CA540 43000004
	ds_read_b32 v68, v4 offset:42368                           // 0000000063B4: D86CA580 44000004
	ds_read_b32 v69, v4 offset:42432                           // 0000000063BC: D86CA5C0 45000004
	ds_read_b32 v70, v4 offset:42496                           // 0000000063C4: D86CA600 46000004
	ds_read_b32 v71, v4 offset:42560                           // 0000000063CC: D86CA640 47000004
	s_waitcnt lgkmcnt(0)                                       // 0000000063D4: BF8CC07F
	v_max3_f32 v8, v56, v57, v8                                // 0000000063D8: D1D30008 04227338
	v_max3_f32 v8, v58, v59, v8                                // 0000000063E0: D1D30008 0422773A
	v_max3_f32 v8, v60, v61, v8                                // 0000000063E8: D1D30008 04227B3C
	v_max3_f32 v8, v62, v63, v8                                // 0000000063F0: D1D30008 04227F3E
	v_max3_f32 v8, v64, v65, v8                                // 0000000063F8: D1D30008 04228340
	v_max3_f32 v8, v66, v67, v8                                // 000000006400: D1D30008 04228742
	v_max3_f32 v8, v68, v69, v8                                // 000000006408: D1D30008 04228B44
	v_max3_f32 v8, v70, v71, v8                                // 000000006410: D1D30008 04228F46
	v_cmp_eq_u32_e64 s[32:33], v11, v12                        // 000000006418: D0CA0020 0002190B
	v_max_f32_e32 v13, v8, v12                                 // 000000006420: 161A1908
	v_sub_f32_e32 v18, v12, v13                                // 000000006424: 04241B0C
	v_cndmask_b32_e64 v18, v18, 0, s[32:33]                    // 000000006428: D1000012 00810112
	v_mov_b32_e32 v12, v13                                     // 000000006430: 7E18030D
	v_mul_f32_e32 v9, s5, v13                                  // 000000006434: 0A121A05
	v_mul_f32_e32 v18, s5, v18                                 // 000000006438: 0A242405
	v_exp_f32_e32 v18, v18                                     // 00000000643C: 7E244112
	v_fma_f32 v88, v88, s5, -v9                                // 000000006440: D1CB0058 84240B58
	v_fma_f32 v89, v89, s5, -v9                                // 000000006448: D1CB0059 84240B59
	v_fma_f32 v90, v90, s5, -v9                                // 000000006450: D1CB005A 84240B5A
	v_fma_f32 v91, v91, s5, -v9                                // 000000006458: D1CB005B 84240B5B
	v_exp_f32_e32 v88, v88                                     // 000000006460: 7EB04158
	v_exp_f32_e32 v89, v89                                     // 000000006464: 7EB24159
	v_exp_f32_e32 v90, v90                                     // 000000006468: 7EB4415A
	v_exp_f32_e32 v91, v91                                     // 00000000646C: 7EB6415B
	v_mul_f32_e32 v14, v18, v14                                // 000000006470: 0A1C1D12
	v_mov_b32_e32 v15, v88                                     // 000000006474: 7E1E0358
	v_add_f32_e32 v15, v89, v15                                // 000000006478: 021E1F59
	v_add_f32_e32 v15, v90, v15                                // 00000000647C: 021E1F5A
	v_add_f32_e32 v15, v91, v15                                // 000000006480: 021E1F5B
	v_add_f32_e32 v14, v15, v14                                // 000000006484: 021C1D0F
	v_cmp_u_f32_e64 s[32:33], v88, v88                         // 000000006488: D0480020 0002B158
	v_add3_u32 v28, v88, v31, 1                                // 000000006490: D1FF001C 02063F58
	v_cndmask_b32_e64 v32, v28, v30, s[32:33]                  // 000000006498: D1000020 00823D1C
	v_cmp_u_f32_e64 s[32:33], v89, v89                         // 0000000064A0: D0480020 0002B359
	v_add3_u32 v28, v89, v31, 1                                // 0000000064A8: D1FF001C 02063F59
	v_cndmask_b32_e64 v33, v28, v30, s[32:33]                  // 0000000064B0: D1000021 00823D1C
	v_perm_b32 v88, v33, v32, s52                              // 0000000064B8: D1ED0058 00D24121
	v_cmp_u_f32_e64 s[32:33], v90, v90                         // 0000000064C0: D0480020 0002B55A
	v_add3_u32 v28, v90, v31, 1                                // 0000000064C8: D1FF001C 02063F5A
	v_cndmask_b32_e64 v32, v28, v30, s[32:33]                  // 0000000064D0: D1000020 00823D1C
	v_cmp_u_f32_e64 s[32:33], v91, v91                         // 0000000064D8: D0480020 0002B75B
	v_add3_u32 v28, v91, v31, 1                                // 0000000064E0: D1FF001C 02063F5B
	v_cndmask_b32_e64 v33, v28, v30, s[32:33]                  // 0000000064E8: D1000021 00823D1C
	v_perm_b32 v89, v33, v32, s52                              // 0000000064F0: D1ED0059 00D24121
	ds_write_b64 v7, v[88:89] offset:42624                     // 0000000064F8: D89AA680 00005807
	s_waitcnt lgkmcnt(0)                                       // 000000006500: BF8CC07F
	s_barrier                                                  // 000000006504: BF8A0000
	ds_read_b64 v[88:89], v6 offset:42624                      // 000000006508: D8ECA680 58000006
	ds_read_b64 v[90:91], v6 offset:42752                      // 000000006510: D8ECA700 5A000006
	ds_read_b64 v[92:93], v6 offset:43648                      // 000000006518: D8ECAA80 5C000006
	ds_read_b64 v[94:95], v6 offset:43776                      // 000000006520: D8ECAB00 5E000006
	v_mul_u32_u24_dpp v40, v25, v10 row_newbcast:0 row_mask:0xf bank_mask:0xf// 000000006528: 105014FA FF015019
	v_mul_u32_u24_dpp v41, v25, v10 row_newbcast:1 row_mask:0xf bank_mask:0xf// 000000006530: 105214FA FF015119
	v_mul_u32_u24_dpp v42, v25, v10 row_newbcast:2 row_mask:0xf bank_mask:0xf// 000000006538: 105414FA FF015219
	v_mul_u32_u24_dpp v43, v25, v10 row_newbcast:3 row_mask:0xf bank_mask:0xf// 000000006540: 105614FA FF015319
	v_mul_u32_u24_dpp v44, v25, v10 row_newbcast:4 row_mask:0xf bank_mask:0xf// 000000006548: 105814FA FF015419
	v_mul_u32_u24_dpp v45, v25, v10 row_newbcast:5 row_mask:0xf bank_mask:0xf// 000000006550: 105A14FA FF015519
	v_mul_u32_u24_dpp v46, v25, v10 row_newbcast:6 row_mask:0xf bank_mask:0xf// 000000006558: 105C14FA FF015619
	v_mul_u32_u24_dpp v47, v25, v10 row_newbcast:7 row_mask:0xf bank_mask:0xf// 000000006560: 105E14FA FF015719
	v_mul_u32_u24_dpp v48, v25, v10 row_newbcast:8 row_mask:0xf bank_mask:0xf// 000000006568: 106014FA FF015819
	v_mul_u32_u24_dpp v49, v25, v10 row_newbcast:9 row_mask:0xf bank_mask:0xf// 000000006570: 106214FA FF015919
	v_mul_u32_u24_dpp v50, v25, v10 row_newbcast:10 row_mask:0xf bank_mask:0xf// 000000006578: 106414FA FF015A19
	v_mul_u32_u24_dpp v51, v25, v10 row_newbcast:11 row_mask:0xf bank_mask:0xf// 000000006580: 106614FA FF015B19
	v_mul_u32_u24_dpp v52, v25, v10 row_newbcast:12 row_mask:0xf bank_mask:0xf// 000000006588: 106814FA FF015C19
	v_mul_u32_u24_dpp v53, v25, v10 row_newbcast:13 row_mask:0xf bank_mask:0xf// 000000006590: 106A14FA FF015D19
	v_mul_u32_u24_dpp v54, v25, v10 row_newbcast:14 row_mask:0xf bank_mask:0xf// 000000006598: 106C14FA FF015E19
	v_mul_u32_u24_dpp v55, v25, v10 row_newbcast:15 row_mask:0xf bank_mask:0xf// 0000000065A0: 106E14FA FF015F19
	s_mov_b32 s56, m0                                          // 0000000065A8: BEB8007C
	s_set_gpr_idx_on s51, gpr_idx(SRC0)                        // 0000000065AC: BF110133
	v_add_u32_e32 v36, v40, v3                                 // 0000000065B0: 68480728
	v_add_u32_e32 v37, v41, v3                                 // 0000000065B4: 684A0729
	v_add_u32_e32 v38, v42, v3                                 // 0000000065B8: 684C072A
	v_add_u32_e32 v39, v43, v3                                 // 0000000065BC: 684E072B
	s_set_gpr_idx_off                                          // 0000000065C0: BF9C0000
	s_mov_b32 m0, s56                                          // 0000000065C4: BEFC0038
	v_add_u32_e32 v40, v40, v2                                 // 0000000065C8: 68500528
	v_add_u32_e32 v41, v41, v2                                 // 0000000065CC: 68520529
	v_add_u32_e32 v42, v42, v2                                 // 0000000065D0: 6854052A
	v_add_u32_e32 v43, v43, v2                                 // 0000000065D4: 6856052B
	v_add_u32_e32 v44, v44, v2                                 // 0000000065D8: 6858052C
	v_add_u32_e32 v45, v45, v2                                 // 0000000065DC: 685A052D
	v_add_u32_e32 v46, v46, v2                                 // 0000000065E0: 685C052E
	v_add_u32_e32 v47, v47, v2                                 // 0000000065E4: 685E052F
	v_add_u32_e32 v48, v48, v2                                 // 0000000065E8: 68600530
	v_add_u32_e32 v49, v49, v2                                 // 0000000065EC: 68620531
	v_add_u32_e32 v50, v50, v2                                 // 0000000065F0: 68640532
	v_add_u32_e32 v51, v51, v2                                 // 0000000065F4: 68660533
	v_add_u32_e32 v52, v52, v2                                 // 0000000065F8: 68680534
	v_add_u32_e32 v53, v53, v2                                 // 0000000065FC: 686A0535
	v_add_u32_e32 v54, v54, v2                                 // 000000006600: 686C0536
	v_add_u32_e32 v55, v55, v2                                 // 000000006604: 686E0537
	s_waitcnt lgkmcnt(0)                                       // 000000006608: BF8CC07F
	v_mul_f32_e32 v96, v18, v96                                // 00000000660C: 0AC0C112
	v_mul_f32_e32 v97, v18, v97                                // 000000006610: 0AC2C312
	v_mul_f32_e32 v98, v18, v98                                // 000000006614: 0AC4C512
	v_mul_f32_e32 v99, v18, v99                                // 000000006618: 0AC6C712
	v_mul_f32_e32 v100, v18, v100                              // 00000000661C: 0AC8C912
	v_mul_f32_e32 v101, v18, v101                              // 000000006620: 0ACACB12
	v_mul_f32_e32 v102, v18, v102                              // 000000006624: 0ACCCD12
	v_mul_f32_e32 v103, v18, v103                              // 000000006628: 0ACECF12
	v_mul_f32_e32 v104, v18, v104                              // 00000000662C: 0AD0D112
	v_mul_f32_e32 v105, v18, v105                              // 000000006630: 0AD2D312
	v_mul_f32_e32 v106, v18, v106                              // 000000006634: 0AD4D512
	v_mul_f32_e32 v107, v18, v107                              // 000000006638: 0AD6D712
	v_mul_f32_e32 v108, v18, v108                              // 00000000663C: 0AD8D912
	v_mul_f32_e32 v109, v18, v109                              // 000000006640: 0ADADB12
	v_mul_f32_e32 v110, v18, v110                              // 000000006644: 0ADCDD12
	v_mul_f32_e32 v111, v18, v111                              // 000000006648: 0ADEDF12
	v_mul_f32_e32 v112, v18, v112                              // 00000000664C: 0AE0E112
	v_mul_f32_e32 v113, v18, v113                              // 000000006650: 0AE2E312
	v_mul_f32_e32 v114, v18, v114                              // 000000006654: 0AE4E512
	v_mul_f32_e32 v115, v18, v115                              // 000000006658: 0AE6E712
	v_mul_f32_e32 v116, v18, v116                              // 00000000665C: 0AE8E912
	v_mul_f32_e32 v117, v18, v117                              // 000000006660: 0AEAEB12
	v_mul_f32_e32 v118, v18, v118                              // 000000006664: 0AECED12
	v_mul_f32_e32 v119, v18, v119                              // 000000006668: 0AEEEF12
	v_mul_f32_e32 v120, v18, v120                              // 00000000666C: 0AF0F112
	v_mul_f32_e32 v121, v18, v121                              // 000000006670: 0AF2F312
	v_mul_f32_e32 v122, v18, v122                              // 000000006674: 0AF4F512
	v_mul_f32_e32 v123, v18, v123                              // 000000006678: 0AF6F712
	v_mul_f32_e32 v124, v18, v124                              // 00000000667C: 0AF8F912
	v_mul_f32_e32 v125, v18, v125                              // 000000006680: 0AFAFB12
	v_mul_f32_e32 v126, v18, v126                              // 000000006684: 0AFCFD12
	v_mul_f32_e32 v127, v18, v127                              // 000000006688: 0AFEFF12
	s_waitcnt vmcnt(0)                                         // 00000000668C: BF8C0F70
	s_barrier                                                  // 000000006690: BF8A0000
	v_mfma_f32_16x16x16_bf16 v[96:99], a[144:145], v[88:89], v[96:99]// 000000006694: D3E10060 0D82B190
	v_mfma_f32_16x16x16_bf16 v[96:99], a[146:147], v[90:91], v[96:99]// 00000000669C: D3E10060 0D82B592
	v_mfma_f32_16x16x16_bf16 v[96:99], a[148:149], v[92:93], v[96:99]// 0000000066A4: D3E10060 0D82B994
	v_mfma_f32_16x16x16_bf16 v[96:99], a[150:151], v[94:95], v[96:99]// 0000000066AC: D3E10060 0D82BD96
	v_mfma_f32_16x16x16_bf16 v[100:103], a[152:153], v[88:89], v[100:103]// 0000000066B4: D3E10064 0D92B198
	v_mfma_f32_16x16x16_bf16 v[100:103], a[154:155], v[90:91], v[100:103]// 0000000066BC: D3E10064 0D92B59A
	v_mfma_f32_16x16x16_bf16 v[100:103], a[156:157], v[92:93], v[100:103]// 0000000066C4: D3E10064 0D92B99C
	v_mfma_f32_16x16x16_bf16 v[100:103], a[158:159], v[94:95], v[100:103]// 0000000066CC: D3E10064 0D92BD9E
	v_mfma_f32_16x16x16_bf16 v[104:107], a[160:161], v[88:89], v[104:107]// 0000000066D4: D3E10068 0DA2B1A0
	v_mfma_f32_16x16x16_bf16 v[104:107], a[162:163], v[90:91], v[104:107]// 0000000066DC: D3E10068 0DA2B5A2
	v_mfma_f32_16x16x16_bf16 v[104:107], a[164:165], v[92:93], v[104:107]// 0000000066E4: D3E10068 0DA2B9A4
	v_mfma_f32_16x16x16_bf16 v[104:107], a[166:167], v[94:95], v[104:107]// 0000000066EC: D3E10068 0DA2BDA6
	v_mfma_f32_16x16x16_bf16 v[108:111], a[168:169], v[88:89], v[108:111]// 0000000066F4: D3E1006C 0DB2B1A8
	v_mfma_f32_16x16x16_bf16 v[108:111], a[170:171], v[90:91], v[108:111]// 0000000066FC: D3E1006C 0DB2B5AA
	v_mfma_f32_16x16x16_bf16 v[108:111], a[172:173], v[92:93], v[108:111]// 000000006704: D3E1006C 0DB2B9AC
	v_mfma_f32_16x16x16_bf16 v[108:111], a[174:175], v[94:95], v[108:111]// 00000000670C: D3E1006C 0DB2BDAE
	v_mfma_f32_16x16x16_bf16 v[112:115], a[176:177], v[88:89], v[112:115]// 000000006714: D3E10070 0DC2B1B0
	v_mfma_f32_16x16x16_bf16 v[112:115], a[178:179], v[90:91], v[112:115]// 00000000671C: D3E10070 0DC2B5B2
	v_mfma_f32_16x16x16_bf16 v[112:115], a[180:181], v[92:93], v[112:115]// 000000006724: D3E10070 0DC2B9B4
	v_mfma_f32_16x16x16_bf16 v[112:115], a[182:183], v[94:95], v[112:115]// 00000000672C: D3E10070 0DC2BDB6
	v_mfma_f32_16x16x16_bf16 v[116:119], a[184:185], v[88:89], v[116:119]// 000000006734: D3E10074 0DD2B1B8
	v_mfma_f32_16x16x16_bf16 v[116:119], a[186:187], v[90:91], v[116:119]// 00000000673C: D3E10074 0DD2B5BA
	v_mfma_f32_16x16x16_bf16 v[116:119], a[188:189], v[92:93], v[116:119]// 000000006744: D3E10074 0DD2B9BC
	v_mfma_f32_16x16x16_bf16 v[116:119], a[190:191], v[94:95], v[116:119]// 00000000674C: D3E10074 0DD2BDBE
	v_mfma_f32_16x16x16_bf16 v[120:123], a[192:193], v[88:89], v[120:123]// 000000006754: D3E10078 0DE2B1C0
	v_mfma_f32_16x16x16_bf16 v[120:123], a[194:195], v[90:91], v[120:123]// 00000000675C: D3E10078 0DE2B5C2
	v_mfma_f32_16x16x16_bf16 v[120:123], a[196:197], v[92:93], v[120:123]// 000000006764: D3E10078 0DE2B9C4
	v_mfma_f32_16x16x16_bf16 v[120:123], a[198:199], v[94:95], v[120:123]// 00000000676C: D3E10078 0DE2BDC6
	v_mfma_f32_16x16x16_bf16 v[124:127], a[200:201], v[88:89], v[124:127]// 000000006774: D3E1007C 0DF2B1C8
	v_mfma_f32_16x16x16_bf16 v[124:127], a[202:203], v[90:91], v[124:127]// 00000000677C: D3E1007C 0DF2B5CA
	v_mfma_f32_16x16x16_bf16 v[124:127], a[204:205], v[92:93], v[124:127]// 000000006784: D3E1007C 0DF2B9CC
	v_mfma_f32_16x16x16_bf16 v[124:127], a[206:207], v[94:95], v[124:127]// 00000000678C: D3E1007C 0DF2BDCE
	s_nop 8                                                    // 000000006794: BF800008
	s_branch label_1352                                        // 000000006798: BF820189

000000000000679c <label_11A7>:
	s_waitcnt vmcnt(0) expcnt(0) lgkmcnt(0)                    // 00000000679C: BF8C0000
	s_barrier                                                  // 0000000067A0: BF8A0000
	v_mfma_f32_16x16x16_bf16 v[88:91], a[72:73], a[0:1], 0     // 0000000067A4: D3E10058 1A020148
	v_mfma_f32_16x16x16_bf16 v[88:91], a[74:75], a[2:3], v[88:91]// 0000000067AC: D3E10058 1D62054A
	v_mfma_f32_16x16x16_bf16 v[88:91], a[76:77], a[4:5], v[88:91]// 0000000067B4: D3E10058 1D62094C
	v_mfma_f32_16x16x16_bf16 v[88:91], a[78:79], a[6:7], v[88:91]// 0000000067BC: D3E10058 1D620D4E
	v_mfma_f32_16x16x16_bf16 v[88:91], a[80:81], a[8:9], v[88:91]// 0000000067C4: D3E10058 1D621150
	v_mfma_f32_16x16x16_bf16 v[88:91], a[82:83], a[10:11], v[88:91]// 0000000067CC: D3E10058 1D621552
	v_mfma_f32_16x16x16_bf16 v[88:91], a[84:85], a[12:13], v[88:91]// 0000000067D4: D3E10058 1D621954
	v_mfma_f32_16x16x16_bf16 v[88:91], a[86:87], a[14:15], v[88:91]// 0000000067DC: D3E10058 1D621D56
	v_mfma_f32_16x16x16_bf16 v[88:91], a[88:89], a[16:17], v[88:91]// 0000000067E4: D3E10058 1D622158
	v_mfma_f32_16x16x16_bf16 v[88:91], a[90:91], a[18:19], v[88:91]// 0000000067EC: D3E10058 1D62255A
	v_mfma_f32_16x16x16_bf16 v[88:91], a[92:93], a[20:21], v[88:91]// 0000000067F4: D3E10058 1D62295C
	v_mfma_f32_16x16x16_bf16 v[88:91], a[94:95], a[22:23], v[88:91]// 0000000067FC: D3E10058 1D622D5E
	v_mfma_f32_16x16x16_bf16 v[88:91], a[96:97], a[24:25], v[88:91]// 000000006804: D3E10058 1D623160
	v_mfma_f32_16x16x16_bf16 v[88:91], a[98:99], a[26:27], v[88:91]// 00000000680C: D3E10058 1D623562
	v_mfma_f32_16x16x16_bf16 v[88:91], a[100:101], a[28:29], v[88:91]// 000000006814: D3E10058 1D623964
	v_mfma_f32_16x16x16_bf16 v[88:91], a[102:103], a[30:31], v[88:91]// 00000000681C: D3E10058 1D623D66
	v_mfma_f32_16x16x16_bf16 v[88:91], a[104:105], a[32:33], v[88:91]// 000000006824: D3E10058 1D624168
	v_mfma_f32_16x16x16_bf16 v[88:91], a[106:107], a[34:35], v[88:91]// 00000000682C: D3E10058 1D62456A
	v_mfma_f32_16x16x16_bf16 v[88:91], a[108:109], a[36:37], v[88:91]// 000000006834: D3E10058 1D62496C
	v_mfma_f32_16x16x16_bf16 v[88:91], a[110:111], a[38:39], v[88:91]// 00000000683C: D3E10058 1D624D6E
	v_mfma_f32_16x16x16_bf16 v[88:91], a[112:113], a[40:41], v[88:91]// 000000006844: D3E10058 1D625170
	v_mfma_f32_16x16x16_bf16 v[88:91], a[114:115], a[42:43], v[88:91]// 00000000684C: D3E10058 1D625572
	v_mfma_f32_16x16x16_bf16 v[88:91], a[116:117], a[44:45], v[88:91]// 000000006854: D3E10058 1D625974
	v_mfma_f32_16x16x16_bf16 v[88:91], a[118:119], a[46:47], v[88:91]// 00000000685C: D3E10058 1D625D76
	v_mfma_f32_16x16x16_bf16 v[88:91], a[120:121], a[48:49], v[88:91]// 000000006864: D3E10058 1D626178
	v_mfma_f32_16x16x16_bf16 v[88:91], a[122:123], a[50:51], v[88:91]// 00000000686C: D3E10058 1D62657A
	v_mfma_f32_16x16x16_bf16 v[88:91], a[124:125], a[52:53], v[88:91]// 000000006874: D3E10058 1D62697C
	v_mfma_f32_16x16x16_bf16 v[88:91], a[126:127], a[54:55], v[88:91]// 00000000687C: D3E10058 1D626D7E
	v_mfma_f32_16x16x16_bf16 v[88:91], a[128:129], a[56:57], v[88:91]// 000000006884: D3E10058 1D627180
	v_mfma_f32_16x16x16_bf16 v[88:91], a[130:131], a[58:59], v[88:91]// 00000000688C: D3E10058 1D627582
	v_mfma_f32_16x16x16_bf16 v[88:91], a[132:133], a[60:61], v[88:91]// 000000006894: D3E10058 1D627984
	v_mfma_f32_16x16x16_bf16 v[88:91], a[134:135], a[62:63], v[88:91]// 00000000689C: D3E10058 1D627D86
	v_mfma_f32_16x16x16_bf16 v[88:91], a[136:137], a[64:65], v[88:91]// 0000000068A4: D3E10058 1D628188
	v_mfma_f32_16x16x16_bf16 v[88:91], a[138:139], a[66:67], v[88:91]// 0000000068AC: D3E10058 1D62858A
	v_mfma_f32_16x16x16_bf16 v[88:91], a[140:141], a[68:69], v[88:91]// 0000000068B4: D3E10058 1D62898C
	v_mfma_f32_16x16x16_bf16 v[88:91], a[142:143], a[70:71], v[88:91]// 0000000068BC: D3E10058 1D628D8E
	s_nop 8                                                    // 0000000068C4: BF800008
	s_and_b32 s56, s48, 0xff                                   // 0000000068C8: 8638FF30 000000FF
	v_mov_b32_e32 v43, s56                                     // 0000000068D0: 7E560238
	v_lshrrev_b32_e32 v44, 4, v0                               // 0000000068D4: 20580084
	v_mul_i32_i24_e32 v44, 4, v44                              // 0000000068D8: 0C585884
	s_mul_i32 s56, s7, 16                                      // 0000000068DC: 92389007
	v_add_u32_e32 v44, s56, v44                                // 0000000068E0: 68585838
	v_add_u32_e32 v45, 1, v44                                  // 0000000068E4: 685A5881
	v_add_u32_e32 v46, 2, v44                                  // 0000000068E8: 685C5882
	v_add_u32_e32 v47, 3, v44                                  // 0000000068EC: 685E5883
	v_cmp_lt_u32_e64 s[32:33], v44, v43                        // 0000000068F0: D0C90020 0002572C
	v_add_u32_e32 v44, 64, v44                                 // 0000000068F8: 685858C0
	s_nop 0                                                    // 0000000068FC: BF800000
	v_cndmask_b32_e64 v88, v11, v88, s[32:33]                  // 000000006900: D1000058 0082B10B
	v_cmp_lt_u32_e64 s[32:33], v45, v43                        // 000000006908: D0C90020 0002572D
	v_add_u32_e32 v45, 64, v45                                 // 000000006910: 685A5AC0
	s_nop 0                                                    // 000000006914: BF800000
	v_cndmask_b32_e64 v89, v11, v89, s[32:33]                  // 000000006918: D1000059 0082B30B
	v_cmp_lt_u32_e64 s[32:33], v46, v43                        // 000000006920: D0C90020 0002572E
	v_add_u32_e32 v46, 64, v46                                 // 000000006928: 685C5CC0
	s_nop 0                                                    // 00000000692C: BF800000
	v_cndmask_b32_e64 v90, v11, v90, s[32:33]                  // 000000006930: D100005A 0082B50B
	v_cmp_lt_u32_e64 s[32:33], v47, v43                        // 000000006938: D0C90020 0002572F
	v_add_u32_e32 v47, 64, v47                                 // 000000006940: 685E5EC0
	s_nop 0                                                    // 000000006944: BF800000
	v_cndmask_b32_e64 v91, v11, v91, s[32:33]                  // 000000006948: D100005B 0082B70B
	s_nop 8                                                    // 000000006950: BF800008
	v_mov_b32_e32 v8, v88                                      // 000000006954: 7E100358
	v_max3_f32 v8, v88, v89, v8                                // 000000006958: D1D30008 0422B358
	v_max3_f32 v8, v90, v91, v8                                // 000000006960: D1D30008 0422B75A
	ds_write_b32 v5, v8 offset:41600                           // 000000006968: D81AA280 00000805
	s_waitcnt lgkmcnt(0)                                       // 000000006970: BF8CC07F
	s_barrier                                                  // 000000006974: BF8A0000
	ds_read_b32 v56, v4 offset:41600                           // 000000006978: D86CA280 38000004
	ds_read_b32 v57, v4 offset:41664                           // 000000006980: D86CA2C0 39000004
	ds_read_b32 v58, v4 offset:41728                           // 000000006988: D86CA300 3A000004
	ds_read_b32 v59, v4 offset:41792                           // 000000006990: D86CA340 3B000004
	ds_read_b32 v60, v4 offset:41856                           // 000000006998: D86CA380 3C000004
	ds_read_b32 v61, v4 offset:41920                           // 0000000069A0: D86CA3C0 3D000004
	ds_read_b32 v62, v4 offset:41984                           // 0000000069A8: D86CA400 3E000004
	ds_read_b32 v63, v4 offset:42048                           // 0000000069B0: D86CA440 3F000004
	ds_read_b32 v64, v4 offset:42112                           // 0000000069B8: D86CA480 40000004
	ds_read_b32 v65, v4 offset:42176                           // 0000000069C0: D86CA4C0 41000004
	ds_read_b32 v66, v4 offset:42240                           // 0000000069C8: D86CA500 42000004
	ds_read_b32 v67, v4 offset:42304                           // 0000000069D0: D86CA540 43000004
	ds_read_b32 v68, v4 offset:42368                           // 0000000069D8: D86CA580 44000004
	ds_read_b32 v69, v4 offset:42432                           // 0000000069E0: D86CA5C0 45000004
	ds_read_b32 v70, v4 offset:42496                           // 0000000069E8: D86CA600 46000004
	ds_read_b32 v71, v4 offset:42560                           // 0000000069F0: D86CA640 47000004
	s_waitcnt lgkmcnt(0)                                       // 0000000069F8: BF8CC07F
	v_max3_f32 v8, v56, v57, v8                                // 0000000069FC: D1D30008 04227338
	v_max3_f32 v8, v58, v59, v8                                // 000000006A04: D1D30008 0422773A
	v_max3_f32 v8, v60, v61, v8                                // 000000006A0C: D1D30008 04227B3C
	v_max3_f32 v8, v62, v63, v8                                // 000000006A14: D1D30008 04227F3E
	v_max3_f32 v8, v64, v65, v8                                // 000000006A1C: D1D30008 04228340
	v_max3_f32 v8, v66, v67, v8                                // 000000006A24: D1D30008 04228742
	v_max3_f32 v8, v68, v69, v8                                // 000000006A2C: D1D30008 04228B44
	v_max3_f32 v8, v70, v71, v8                                // 000000006A34: D1D30008 04228F46
	v_cmp_eq_u32_e64 s[32:33], v11, v12                        // 000000006A3C: D0CA0020 0002190B
	v_max_f32_e32 v13, v8, v12                                 // 000000006A44: 161A1908
	v_sub_f32_e32 v18, v12, v13                                // 000000006A48: 04241B0C
	v_cndmask_b32_e64 v18, v18, 0, s[32:33]                    // 000000006A4C: D1000012 00810112
	v_mov_b32_e32 v12, v13                                     // 000000006A54: 7E18030D
	v_mul_f32_e32 v9, s5, v13                                  // 000000006A58: 0A121A05
	v_mul_f32_e32 v18, s5, v18                                 // 000000006A5C: 0A242405
	v_exp_f32_e32 v18, v18                                     // 000000006A60: 7E244112
	v_fma_f32 v88, v88, s5, -v9                                // 000000006A64: D1CB0058 84240B58
	v_fma_f32 v89, v89, s5, -v9                                // 000000006A6C: D1CB0059 84240B59
	v_fma_f32 v90, v90, s5, -v9                                // 000000006A74: D1CB005A 84240B5A
	v_fma_f32 v91, v91, s5, -v9                                // 000000006A7C: D1CB005B 84240B5B
	v_exp_f32_e32 v88, v88                                     // 000000006A84: 7EB04158
	v_exp_f32_e32 v89, v89                                     // 000000006A88: 7EB24159
	v_exp_f32_e32 v90, v90                                     // 000000006A8C: 7EB4415A
	v_exp_f32_e32 v91, v91                                     // 000000006A90: 7EB6415B
	v_mul_f32_e32 v14, v18, v14                                // 000000006A94: 0A1C1D12
	v_mov_b32_e32 v15, v88                                     // 000000006A98: 7E1E0358
	v_add_f32_e32 v15, v89, v15                                // 000000006A9C: 021E1F59
	v_add_f32_e32 v15, v90, v15                                // 000000006AA0: 021E1F5A
	v_add_f32_e32 v15, v91, v15                                // 000000006AA4: 021E1F5B
	v_add_f32_e32 v14, v15, v14                                // 000000006AA8: 021C1D0F
	v_cmp_u_f32_e64 s[32:33], v88, v88                         // 000000006AAC: D0480020 0002B158
	v_add3_u32 v28, v88, v31, 1                                // 000000006AB4: D1FF001C 02063F58
	v_cndmask_b32_e64 v32, v28, v30, s[32:33]                  // 000000006ABC: D1000020 00823D1C
	v_cmp_u_f32_e64 s[32:33], v89, v89                         // 000000006AC4: D0480020 0002B359
	v_add3_u32 v28, v89, v31, 1                                // 000000006ACC: D1FF001C 02063F59
	v_cndmask_b32_e64 v33, v28, v30, s[32:33]                  // 000000006AD4: D1000021 00823D1C
	v_perm_b32 v88, v33, v32, s52                              // 000000006ADC: D1ED0058 00D24121
	v_cmp_u_f32_e64 s[32:33], v90, v90                         // 000000006AE4: D0480020 0002B55A
	v_add3_u32 v28, v90, v31, 1                                // 000000006AEC: D1FF001C 02063F5A
	v_cndmask_b32_e64 v32, v28, v30, s[32:33]                  // 000000006AF4: D1000020 00823D1C
	v_cmp_u_f32_e64 s[32:33], v91, v91                         // 000000006AFC: D0480020 0002B75B
	v_add3_u32 v28, v91, v31, 1                                // 000000006B04: D1FF001C 02063F5B
	v_cndmask_b32_e64 v33, v28, v30, s[32:33]                  // 000000006B0C: D1000021 00823D1C
	v_perm_b32 v89, v33, v32, s52                              // 000000006B14: D1ED0059 00D24121
	ds_write_b64 v7, v[88:89] offset:42624                     // 000000006B1C: D89AA680 00005807
	s_waitcnt lgkmcnt(0)                                       // 000000006B24: BF8CC07F
	s_barrier                                                  // 000000006B28: BF8A0000
	ds_read_b64 v[88:89], v6 offset:42624                      // 000000006B2C: D8ECA680 58000006
	ds_read_b64 v[90:91], v6 offset:42752                      // 000000006B34: D8ECA700 5A000006
	ds_read_b64 v[92:93], v6 offset:43648                      // 000000006B3C: D8ECAA80 5C000006
	ds_read_b64 v[94:95], v6 offset:43776                      // 000000006B44: D8ECAB00 5E000006
	v_mul_u32_u24_dpp v40, v24, v10 row_newbcast:0 row_mask:0xf bank_mask:0xf// 000000006B4C: 105014FA FF015018
	v_mul_u32_u24_dpp v41, v24, v10 row_newbcast:1 row_mask:0xf bank_mask:0xf// 000000006B54: 105214FA FF015118
	v_mul_u32_u24_dpp v42, v24, v10 row_newbcast:2 row_mask:0xf bank_mask:0xf// 000000006B5C: 105414FA FF015218
	v_mul_u32_u24_dpp v43, v24, v10 row_newbcast:3 row_mask:0xf bank_mask:0xf// 000000006B64: 105614FA FF015318
	v_mul_u32_u24_dpp v44, v24, v10 row_newbcast:4 row_mask:0xf bank_mask:0xf// 000000006B6C: 105814FA FF015418
	v_mul_u32_u24_dpp v45, v24, v10 row_newbcast:5 row_mask:0xf bank_mask:0xf// 000000006B74: 105A14FA FF015518
	v_mul_u32_u24_dpp v46, v24, v10 row_newbcast:6 row_mask:0xf bank_mask:0xf// 000000006B7C: 105C14FA FF015618
	v_mul_u32_u24_dpp v47, v24, v10 row_newbcast:7 row_mask:0xf bank_mask:0xf// 000000006B84: 105E14FA FF015718
	v_mul_u32_u24_dpp v48, v24, v10 row_newbcast:8 row_mask:0xf bank_mask:0xf// 000000006B8C: 106014FA FF015818
	v_mul_u32_u24_dpp v49, v24, v10 row_newbcast:9 row_mask:0xf bank_mask:0xf// 000000006B94: 106214FA FF015918
	v_mul_u32_u24_dpp v50, v24, v10 row_newbcast:10 row_mask:0xf bank_mask:0xf// 000000006B9C: 106414FA FF015A18
	v_mul_u32_u24_dpp v51, v24, v10 row_newbcast:11 row_mask:0xf bank_mask:0xf// 000000006BA4: 106614FA FF015B18
	v_mul_u32_u24_dpp v52, v24, v10 row_newbcast:12 row_mask:0xf bank_mask:0xf// 000000006BAC: 106814FA FF015C18
	v_mul_u32_u24_dpp v53, v24, v10 row_newbcast:13 row_mask:0xf bank_mask:0xf// 000000006BB4: 106A14FA FF015D18
	v_mul_u32_u24_dpp v54, v24, v10 row_newbcast:14 row_mask:0xf bank_mask:0xf// 000000006BBC: 106C14FA FF015E18
	v_mul_u32_u24_dpp v55, v24, v10 row_newbcast:15 row_mask:0xf bank_mask:0xf// 000000006BC4: 106E14FA FF015F18
	s_mov_b32 s56, m0                                          // 000000006BCC: BEB8007C
	s_set_gpr_idx_on s51, gpr_idx(SRC0)                        // 000000006BD0: BF110133
	v_add_u32_e32 v36, v40, v3                                 // 000000006BD4: 68480728
	v_add_u32_e32 v37, v41, v3                                 // 000000006BD8: 684A0729
	v_add_u32_e32 v38, v42, v3                                 // 000000006BDC: 684C072A
	v_add_u32_e32 v39, v43, v3                                 // 000000006BE0: 684E072B
	s_set_gpr_idx_off                                          // 000000006BE4: BF9C0000
	s_mov_b32 m0, s56                                          // 000000006BE8: BEFC0038
	v_add_u32_e32 v40, v40, v2                                 // 000000006BEC: 68500528
	v_add_u32_e32 v41, v41, v2                                 // 000000006BF0: 68520529
	v_add_u32_e32 v42, v42, v2                                 // 000000006BF4: 6854052A
	v_add_u32_e32 v43, v43, v2                                 // 000000006BF8: 6856052B
	v_add_u32_e32 v44, v44, v2                                 // 000000006BFC: 6858052C
	v_add_u32_e32 v45, v45, v2                                 // 000000006C00: 685A052D
	v_add_u32_e32 v46, v46, v2                                 // 000000006C04: 685C052E
	v_add_u32_e32 v47, v47, v2                                 // 000000006C08: 685E052F
	v_add_u32_e32 v48, v48, v2                                 // 000000006C0C: 68600530
	v_add_u32_e32 v49, v49, v2                                 // 000000006C10: 68620531
	v_add_u32_e32 v50, v50, v2                                 // 000000006C14: 68640532
	v_add_u32_e32 v51, v51, v2                                 // 000000006C18: 68660533
	v_add_u32_e32 v52, v52, v2                                 // 000000006C1C: 68680534
	v_add_u32_e32 v53, v53, v2                                 // 000000006C20: 686A0535
	v_add_u32_e32 v54, v54, v2                                 // 000000006C24: 686C0536
	v_add_u32_e32 v55, v55, v2                                 // 000000006C28: 686E0537
	s_waitcnt lgkmcnt(0)                                       // 000000006C2C: BF8CC07F
	v_mul_f32_e32 v96, v18, v96                                // 000000006C30: 0AC0C112
	v_mul_f32_e32 v97, v18, v97                                // 000000006C34: 0AC2C312
	v_mul_f32_e32 v98, v18, v98                                // 000000006C38: 0AC4C512
	v_mul_f32_e32 v99, v18, v99                                // 000000006C3C: 0AC6C712
	v_mul_f32_e32 v100, v18, v100                              // 000000006C40: 0AC8C912
	v_mul_f32_e32 v101, v18, v101                              // 000000006C44: 0ACACB12
	v_mul_f32_e32 v102, v18, v102                              // 000000006C48: 0ACCCD12
	v_mul_f32_e32 v103, v18, v103                              // 000000006C4C: 0ACECF12
	v_mul_f32_e32 v104, v18, v104                              // 000000006C50: 0AD0D112
	v_mul_f32_e32 v105, v18, v105                              // 000000006C54: 0AD2D312
	v_mul_f32_e32 v106, v18, v106                              // 000000006C58: 0AD4D512
	v_mul_f32_e32 v107, v18, v107                              // 000000006C5C: 0AD6D712
	v_mul_f32_e32 v108, v18, v108                              // 000000006C60: 0AD8D912
	v_mul_f32_e32 v109, v18, v109                              // 000000006C64: 0ADADB12
	v_mul_f32_e32 v110, v18, v110                              // 000000006C68: 0ADCDD12
	v_mul_f32_e32 v111, v18, v111                              // 000000006C6C: 0ADEDF12
	v_mul_f32_e32 v112, v18, v112                              // 000000006C70: 0AE0E112
	v_mul_f32_e32 v113, v18, v113                              // 000000006C74: 0AE2E312
	v_mul_f32_e32 v114, v18, v114                              // 000000006C78: 0AE4E512
	v_mul_f32_e32 v115, v18, v115                              // 000000006C7C: 0AE6E712
	v_mul_f32_e32 v116, v18, v116                              // 000000006C80: 0AE8E912
	v_mul_f32_e32 v117, v18, v117                              // 000000006C84: 0AEAEB12
	v_mul_f32_e32 v118, v18, v118                              // 000000006C88: 0AECED12
	v_mul_f32_e32 v119, v18, v119                              // 000000006C8C: 0AEEEF12
	v_mul_f32_e32 v120, v18, v120                              // 000000006C90: 0AF0F112
	v_mul_f32_e32 v121, v18, v121                              // 000000006C94: 0AF2F312
	v_mul_f32_e32 v122, v18, v122                              // 000000006C98: 0AF4F512
	v_mul_f32_e32 v123, v18, v123                              // 000000006C9C: 0AF6F712
	v_mul_f32_e32 v124, v18, v124                              // 000000006CA0: 0AF8F912
	v_mul_f32_e32 v125, v18, v125                              // 000000006CA4: 0AFAFB12
	v_mul_f32_e32 v126, v18, v126                              // 000000006CA8: 0AFCFD12
	v_mul_f32_e32 v127, v18, v127                              // 000000006CAC: 0AFEFF12
	s_waitcnt vmcnt(0)                                         // 000000006CB0: BF8C0F70
	s_barrier                                                  // 000000006CB4: BF8A0000
	v_mfma_f32_16x16x16_bf16 v[96:99], a[144:145], v[88:89], v[96:99]// 000000006CB8: D3E10060 0D82B190
	v_mfma_f32_16x16x16_bf16 v[96:99], a[146:147], v[90:91], v[96:99]// 000000006CC0: D3E10060 0D82B592
	v_mfma_f32_16x16x16_bf16 v[96:99], a[148:149], v[92:93], v[96:99]// 000000006CC8: D3E10060 0D82B994
	v_mfma_f32_16x16x16_bf16 v[96:99], a[150:151], v[94:95], v[96:99]// 000000006CD0: D3E10060 0D82BD96
	v_mfma_f32_16x16x16_bf16 v[100:103], a[152:153], v[88:89], v[100:103]// 000000006CD8: D3E10064 0D92B198
	v_mfma_f32_16x16x16_bf16 v[100:103], a[154:155], v[90:91], v[100:103]// 000000006CE0: D3E10064 0D92B59A
	v_mfma_f32_16x16x16_bf16 v[100:103], a[156:157], v[92:93], v[100:103]// 000000006CE8: D3E10064 0D92B99C
	v_mfma_f32_16x16x16_bf16 v[100:103], a[158:159], v[94:95], v[100:103]// 000000006CF0: D3E10064 0D92BD9E
	v_mfma_f32_16x16x16_bf16 v[104:107], a[160:161], v[88:89], v[104:107]// 000000006CF8: D3E10068 0DA2B1A0
	v_mfma_f32_16x16x16_bf16 v[104:107], a[162:163], v[90:91], v[104:107]// 000000006D00: D3E10068 0DA2B5A2
	v_mfma_f32_16x16x16_bf16 v[104:107], a[164:165], v[92:93], v[104:107]// 000000006D08: D3E10068 0DA2B9A4
	v_mfma_f32_16x16x16_bf16 v[104:107], a[166:167], v[94:95], v[104:107]// 000000006D10: D3E10068 0DA2BDA6
	v_mfma_f32_16x16x16_bf16 v[108:111], a[168:169], v[88:89], v[108:111]// 000000006D18: D3E1006C 0DB2B1A8
	v_mfma_f32_16x16x16_bf16 v[108:111], a[170:171], v[90:91], v[108:111]// 000000006D20: D3E1006C 0DB2B5AA
	v_mfma_f32_16x16x16_bf16 v[108:111], a[172:173], v[92:93], v[108:111]// 000000006D28: D3E1006C 0DB2B9AC
	v_mfma_f32_16x16x16_bf16 v[108:111], a[174:175], v[94:95], v[108:111]// 000000006D30: D3E1006C 0DB2BDAE
	v_mfma_f32_16x16x16_bf16 v[112:115], a[176:177], v[88:89], v[112:115]// 000000006D38: D3E10070 0DC2B1B0
	v_mfma_f32_16x16x16_bf16 v[112:115], a[178:179], v[90:91], v[112:115]// 000000006D40: D3E10070 0DC2B5B2
	v_mfma_f32_16x16x16_bf16 v[112:115], a[180:181], v[92:93], v[112:115]// 000000006D48: D3E10070 0DC2B9B4
	v_mfma_f32_16x16x16_bf16 v[112:115], a[182:183], v[94:95], v[112:115]// 000000006D50: D3E10070 0DC2BDB6
	v_mfma_f32_16x16x16_bf16 v[116:119], a[184:185], v[88:89], v[116:119]// 000000006D58: D3E10074 0DD2B1B8
	v_mfma_f32_16x16x16_bf16 v[116:119], a[186:187], v[90:91], v[116:119]// 000000006D60: D3E10074 0DD2B5BA
	v_mfma_f32_16x16x16_bf16 v[116:119], a[188:189], v[92:93], v[116:119]// 000000006D68: D3E10074 0DD2B9BC
	v_mfma_f32_16x16x16_bf16 v[116:119], a[190:191], v[94:95], v[116:119]// 000000006D70: D3E10074 0DD2BDBE
	v_mfma_f32_16x16x16_bf16 v[120:123], a[192:193], v[88:89], v[120:123]// 000000006D78: D3E10078 0DE2B1C0
	v_mfma_f32_16x16x16_bf16 v[120:123], a[194:195], v[90:91], v[120:123]// 000000006D80: D3E10078 0DE2B5C2
	v_mfma_f32_16x16x16_bf16 v[120:123], a[196:197], v[92:93], v[120:123]// 000000006D88: D3E10078 0DE2B9C4
	v_mfma_f32_16x16x16_bf16 v[120:123], a[198:199], v[94:95], v[120:123]// 000000006D90: D3E10078 0DE2BDC6
	v_mfma_f32_16x16x16_bf16 v[124:127], a[200:201], v[88:89], v[124:127]// 000000006D98: D3E1007C 0DF2B1C8
	v_mfma_f32_16x16x16_bf16 v[124:127], a[202:203], v[90:91], v[124:127]// 000000006DA0: D3E1007C 0DF2B5CA
	v_mfma_f32_16x16x16_bf16 v[124:127], a[204:205], v[92:93], v[124:127]// 000000006DA8: D3E1007C 0DF2B9CC
	v_mfma_f32_16x16x16_bf16 v[124:127], a[206:207], v[94:95], v[124:127]// 000000006DB0: D3E1007C 0DF2BDCE
	s_nop 8                                                    // 000000006DB8: BF800008
	s_branch label_1352                                        // 000000006DBC: BF820000

0000000000006dc0 <label_1352>:
	ds_write_b32 v5, v14 offset:41600                          // 000000006DC0: D81AA280 00000E05
	s_waitcnt lgkmcnt(0)                                       // 000000006DC8: BF8CC07F
	s_barrier                                                  // 000000006DCC: BF8A0000
	ds_read_b32 v56, v4 offset:41600                           // 000000006DD0: D86CA280 38000004
	ds_read_b32 v57, v4 offset:41664                           // 000000006DD8: D86CA2C0 39000004
	ds_read_b32 v58, v4 offset:41728                           // 000000006DE0: D86CA300 3A000004
	ds_read_b32 v59, v4 offset:41792                           // 000000006DE8: D86CA340 3B000004
	ds_read_b32 v60, v4 offset:41856                           // 000000006DF0: D86CA380 3C000004
	ds_read_b32 v61, v4 offset:41920                           // 000000006DF8: D86CA3C0 3D000004
	ds_read_b32 v62, v4 offset:41984                           // 000000006E00: D86CA400 3E000004
	ds_read_b32 v63, v4 offset:42048                           // 000000006E08: D86CA440 3F000004
	ds_read_b32 v64, v4 offset:42112                           // 000000006E10: D86CA480 40000004
	ds_read_b32 v65, v4 offset:42176                           // 000000006E18: D86CA4C0 41000004
	ds_read_b32 v66, v4 offset:42240                           // 000000006E20: D86CA500 42000004
	ds_read_b32 v67, v4 offset:42304                           // 000000006E28: D86CA540 43000004
	ds_read_b32 v68, v4 offset:42368                           // 000000006E30: D86CA580 44000004
	ds_read_b32 v69, v4 offset:42432                           // 000000006E38: D86CA5C0 45000004
	ds_read_b32 v70, v4 offset:42496                           // 000000006E40: D86CA600 46000004
	ds_read_b32 v71, v4 offset:42560                           // 000000006E48: D86CA640 47000004
	s_waitcnt lgkmcnt(0)                                       // 000000006E50: BF8CC07F
	v_mov_b32_e32 v14, 0                                       // 000000006E54: 7E1C0280
	v_add_f32_e32 v14, v56, v14                                // 000000006E58: 021C1D38
	v_add_f32_e32 v14, v57, v14                                // 000000006E5C: 021C1D39
	v_add_f32_e32 v14, v58, v14                                // 000000006E60: 021C1D3A
	v_add_f32_e32 v14, v59, v14                                // 000000006E64: 021C1D3B
	v_add_f32_e32 v14, v60, v14                                // 000000006E68: 021C1D3C
	v_add_f32_e32 v14, v61, v14                                // 000000006E6C: 021C1D3D
	v_add_f32_e32 v14, v62, v14                                // 000000006E70: 021C1D3E
	v_add_f32_e32 v14, v63, v14                                // 000000006E74: 021C1D3F
	v_add_f32_e32 v14, v64, v14                                // 000000006E78: 021C1D40
	v_add_f32_e32 v14, v65, v14                                // 000000006E7C: 021C1D41
	v_add_f32_e32 v14, v66, v14                                // 000000006E80: 021C1D42
	v_add_f32_e32 v14, v67, v14                                // 000000006E84: 021C1D43
	v_add_f32_e32 v14, v68, v14                                // 000000006E88: 021C1D44
	v_add_f32_e32 v14, v69, v14                                // 000000006E8C: 021C1D45
	v_add_f32_e32 v14, v70, v14                                // 000000006E90: 021C1D46
	v_add_f32_e32 v14, v71, v14                                // 000000006E94: 021C1D47
	v_mul_f32_e64 v32, v12, s64                                // 000000006E98: D1050020 0000810C
	v_log_f32_e32 v33, v14                                     // 000000006EA0: 7E42430E
	s_nop 1                                                    // 000000006EA4: BF800001
	v_rcp_f32_e32 v14, v14                                     // 000000006EA8: 7E1C450E
	s_nop 1                                                    // 000000006EAC: BF800001
	v_fma_f32 v42, v33, s63, v32                               // 000000006EB0: D1CB002A 04807F21
	v_mul_f32_e32 v96, v14, v96                                // 000000006EB8: 0AC0C10E
	v_mul_f32_e32 v97, v14, v97                                // 000000006EBC: 0AC2C30E
	v_mul_f32_e32 v98, v14, v98                                // 000000006EC0: 0AC4C50E
	v_mul_f32_e32 v99, v14, v99                                // 000000006EC4: 0AC6C70E
	v_mul_f32_e32 v100, v14, v100                              // 000000006EC8: 0AC8C90E
	v_mul_f32_e32 v101, v14, v101                              // 000000006ECC: 0ACACB0E
	v_mul_f32_e32 v102, v14, v102                              // 000000006ED0: 0ACCCD0E
	v_mul_f32_e32 v103, v14, v103                              // 000000006ED4: 0ACECF0E
	v_mul_f32_e32 v104, v14, v104                              // 000000006ED8: 0AD0D10E
	v_mul_f32_e32 v105, v14, v105                              // 000000006EDC: 0AD2D30E
	v_mul_f32_e32 v106, v14, v106                              // 000000006EE0: 0AD4D50E
	v_mul_f32_e32 v107, v14, v107                              // 000000006EE4: 0AD6D70E
	v_mul_f32_e32 v108, v14, v108                              // 000000006EE8: 0AD8D90E
	v_mul_f32_e32 v109, v14, v109                              // 000000006EEC: 0ADADB0E
	v_mul_f32_e32 v110, v14, v110                              // 000000006EF0: 0ADCDD0E
	v_mul_f32_e32 v111, v14, v111                              // 000000006EF4: 0ADEDF0E
	v_mul_f32_e32 v112, v14, v112                              // 000000006EF8: 0AE0E10E
	v_mul_f32_e32 v113, v14, v113                              // 000000006EFC: 0AE2E30E
	v_mul_f32_e32 v114, v14, v114                              // 000000006F00: 0AE4E50E
	v_mul_f32_e32 v115, v14, v115                              // 000000006F04: 0AE6E70E
	v_mul_f32_e32 v116, v14, v116                              // 000000006F08: 0AE8E90E
	v_mul_f32_e32 v117, v14, v117                              // 000000006F0C: 0AEAEB0E
	v_mul_f32_e32 v118, v14, v118                              // 000000006F10: 0AECED0E
	v_mul_f32_e32 v119, v14, v119                              // 000000006F14: 0AEEEF0E
	v_mul_f32_e32 v120, v14, v120                              // 000000006F18: 0AF0F10E
	v_mul_f32_e32 v121, v14, v121                              // 000000006F1C: 0AF2F30E
	v_mul_f32_e32 v122, v14, v122                              // 000000006F20: 0AF4F50E
	v_mul_f32_e32 v123, v14, v123                              // 000000006F24: 0AF6F70E
	v_mul_f32_e32 v124, v14, v124                              // 000000006F28: 0AF8F90E
	v_mul_f32_e32 v125, v14, v125                              // 000000006F2C: 0AFAFB0E
	v_mul_f32_e32 v126, v14, v126                              // 000000006F30: 0AFCFD0E
	v_mul_f32_e32 v127, v14, v127                              // 000000006F34: 0AFEFF0E
	s_waitcnt lgkmcnt(0)                                       // 000000006F38: BF8CC07F
	s_barrier                                                  // 000000006F3C: BF8A0000
	v_lshlrev_b32_e32 v41, 1, v0                               // 000000006F40: 24520081
	s_mul_i32 s56, s7, 0x820                                   // 000000006F44: 9238FF07 00000820
	v_add_u32_e32 v41, s56, v41                                // 000000006F4C: 68525238
	v_lshlrev_b32_e32 v41, 2, v41                              // 000000006F50: 24525282
	v_mov_b32_e32 v32, v96                                     // 000000006F54: 7E400360
	v_mov_b32_e32 v33, v100                                    // 000000006F58: 7E420364
	ds_write_b64 v41, v[32:33]                                 // 000000006F5C: D89A0000 00002029
	v_mov_b32_e32 v32, v104                                    // 000000006F64: 7E400368
	v_mov_b32_e32 v33, v108                                    // 000000006F68: 7E42036C
	ds_write_b64 v41, v[32:33] offset:520                      // 000000006F6C: D89A0208 00002029
	v_mov_b32_e32 v32, v112                                    // 000000006F74: 7E400370
	v_mov_b32_e32 v33, v116                                    // 000000006F78: 7E420374
	ds_write_b64 v41, v[32:33] offset:1040                     // 000000006F7C: D89A0410 00002029
	v_mov_b32_e32 v32, v120                                    // 000000006F84: 7E400378
	v_mov_b32_e32 v33, v124                                    // 000000006F88: 7E42037C
	ds_write_b64 v41, v[32:33] offset:1560                     // 000000006F8C: D89A0618 00002029
	v_mov_b32_e32 v32, v97                                     // 000000006F94: 7E400361
	v_mov_b32_e32 v33, v101                                    // 000000006F98: 7E420365
	ds_write_b64 v41, v[32:33] offset:2080                     // 000000006F9C: D89A0820 00002029
	v_mov_b32_e32 v32, v105                                    // 000000006FA4: 7E400369
	v_mov_b32_e32 v33, v109                                    // 000000006FA8: 7E42036D
	ds_write_b64 v41, v[32:33] offset:2600                     // 000000006FAC: D89A0A28 00002029
	v_mov_b32_e32 v32, v113                                    // 000000006FB4: 7E400371
	v_mov_b32_e32 v33, v117                                    // 000000006FB8: 7E420375
	ds_write_b64 v41, v[32:33] offset:3120                     // 000000006FBC: D89A0C30 00002029
	v_mov_b32_e32 v32, v121                                    // 000000006FC4: 7E400379
	v_mov_b32_e32 v33, v125                                    // 000000006FC8: 7E42037D
	ds_write_b64 v41, v[32:33] offset:3640                     // 000000006FCC: D89A0E38 00002029
	v_mov_b32_e32 v32, v98                                     // 000000006FD4: 7E400362
	v_mov_b32_e32 v33, v102                                    // 000000006FD8: 7E420366
	ds_write_b64 v41, v[32:33] offset:4160                     // 000000006FDC: D89A1040 00002029
	v_mov_b32_e32 v32, v106                                    // 000000006FE4: 7E40036A
	v_mov_b32_e32 v33, v110                                    // 000000006FE8: 7E42036E
	ds_write_b64 v41, v[32:33] offset:4680                     // 000000006FEC: D89A1248 00002029
	v_mov_b32_e32 v32, v114                                    // 000000006FF4: 7E400372
	v_mov_b32_e32 v33, v118                                    // 000000006FF8: 7E420376
	ds_write_b64 v41, v[32:33] offset:5200                     // 000000006FFC: D89A1450 00002029
	v_mov_b32_e32 v32, v122                                    // 000000007004: 7E40037A
	v_mov_b32_e32 v33, v126                                    // 000000007008: 7E42037E
	ds_write_b64 v41, v[32:33] offset:5720                     // 00000000700C: D89A1658 00002029
	v_mov_b32_e32 v32, v99                                     // 000000007014: 7E400363
	v_mov_b32_e32 v33, v103                                    // 000000007018: 7E420367
	ds_write_b64 v41, v[32:33] offset:6240                     // 00000000701C: D89A1860 00002029
	v_mov_b32_e32 v32, v107                                    // 000000007024: 7E40036B
	v_mov_b32_e32 v33, v111                                    // 000000007028: 7E42036F
	ds_write_b64 v41, v[32:33] offset:6760                     // 00000000702C: D89A1A68 00002029
	v_mov_b32_e32 v32, v115                                    // 000000007034: 7E400373
	v_mov_b32_e32 v33, v119                                    // 000000007038: 7E420377
	ds_write_b64 v41, v[32:33] offset:7280                     // 00000000703C: D89A1C70 00002029
	v_mov_b32_e32 v32, v123                                    // 000000007044: 7E40037B
	v_mov_b32_e32 v33, v127                                    // 000000007048: 7E42037F
	ds_write_b64 v41, v[32:33] offset:7800                     // 00000000704C: D89A1E78 00002029
	s_waitcnt lgkmcnt(0)                                       // 000000007054: BF8CC07F
	v_lshrrev_b32_e32 v32, 4, v0                               // 000000007058: 20400084
	v_mul_i32_i24_e32 v41, 32, v32                             // 00000000705C: 0C5240A0
	v_and_b32_e32 v32, 15, v0                                  // 000000007060: 2640008F
	v_mul_i32_i24_e32 v33, 0x82, v32                           // 000000007064: 0C4240FF 00000082
	v_add_u32_e32 v41, v33, v41                                // 00000000706C: 68525321
	s_mul_i32 s56, s7, 0x820                                   // 000000007070: 9238FF07 00000820
	v_add_u32_e32 v41, s56, v41                                // 000000007078: 68525238
	v_lshlrev_b32_e32 v41, 2, v41                              // 00000000707C: 24525282
	ds_read_b64 v[96:97], v41                                  // 000000007080: D8EC0000 60000029
	ds_read_b64 v[98:99], v41 offset:8                         // 000000007088: D8EC0008 62000029
	ds_read_b64 v[100:101], v41 offset:16                      // 000000007090: D8EC0010 64000029
	ds_read_b64 v[102:103], v41 offset:24                      // 000000007098: D8EC0018 66000029
	ds_read_b64 v[104:105], v41 offset:32                      // 0000000070A0: D8EC0020 68000029
	ds_read_b64 v[106:107], v41 offset:40                      // 0000000070A8: D8EC0028 6A000029
	ds_read_b64 v[108:109], v41 offset:48                      // 0000000070B0: D8EC0030 6C000029
	ds_read_b64 v[110:111], v41 offset:56                      // 0000000070B8: D8EC0038 6E000029
	ds_read_b64 v[112:113], v41 offset:64                      // 0000000070C0: D8EC0040 70000029
	ds_read_b64 v[114:115], v41 offset:72                      // 0000000070C8: D8EC0048 72000029
	ds_read_b64 v[116:117], v41 offset:80                      // 0000000070D0: D8EC0050 74000029
	ds_read_b64 v[118:119], v41 offset:88                      // 0000000070D8: D8EC0058 76000029
	ds_read_b64 v[120:121], v41 offset:96                      // 0000000070E0: D8EC0060 78000029
	ds_read_b64 v[122:123], v41 offset:104                     // 0000000070E8: D8EC0068 7A000029
	ds_read_b64 v[124:125], v41 offset:112                     // 0000000070F0: D8EC0070 7C000029
	ds_read_b64 v[126:127], v41 offset:120                     // 0000000070F8: D8EC0078 7E000029
	s_waitcnt lgkmcnt(0)                                       // 000000007100: BF8CC07F
	buffer_store_dwordx2 v[96:97], v17, s[8:11], 0 offen       // 000000007104: E0741000 80026011
	v_add_u32_e32 v17, 0x800, v17                              // 00000000710C: 682222FF 00000800
	buffer_store_dwordx2 v[98:99], v17, s[8:11], 0 offen       // 000000007114: E0741000 80026211
	v_add_u32_e32 v17, 0x800, v17                              // 00000000711C: 682222FF 00000800
	buffer_store_dwordx2 v[100:101], v17, s[8:11], 0 offen     // 000000007124: E0741000 80026411
	v_add_u32_e32 v17, 0x800, v17                              // 00000000712C: 682222FF 00000800
	buffer_store_dwordx2 v[102:103], v17, s[8:11], 0 offen     // 000000007134: E0741000 80026611
	v_add_u32_e32 v17, 0x800, v17                              // 00000000713C: 682222FF 00000800
	buffer_store_dwordx2 v[104:105], v17, s[8:11], 0 offen     // 000000007144: E0741000 80026811
	v_add_u32_e32 v17, 0x800, v17                              // 00000000714C: 682222FF 00000800
	buffer_store_dwordx2 v[106:107], v17, s[8:11], 0 offen     // 000000007154: E0741000 80026A11
	v_add_u32_e32 v17, 0x800, v17                              // 00000000715C: 682222FF 00000800
	buffer_store_dwordx2 v[108:109], v17, s[8:11], 0 offen     // 000000007164: E0741000 80026C11
	v_add_u32_e32 v17, 0x800, v17                              // 00000000716C: 682222FF 00000800
	buffer_store_dwordx2 v[110:111], v17, s[8:11], 0 offen     // 000000007174: E0741000 80026E11
	v_add_u32_e32 v17, 0x800, v17                              // 00000000717C: 682222FF 00000800
	s_mov_b32 exec_lo, 0xff                                    // 000000007184: BEFE00FF 000000FF
	s_mov_b32 exec_hi, 0                                       // 00000000718C: BEFF0080
	buffer_store_dword v42, v16, s[12:15], 0 offen             // 000000007190: E0701000 80032A10

0000000000007198 <label_1448>:
	s_waitcnt vmcnt(0) expcnt(0) lgkmcnt(0)                    // 000000007198: BF8C0000
	s_endpgm                                                   // 00000000719C: BF810000
